;; amdgpu-corpus repo=ROCm/rocFFT kind=compiled arch=gfx950 opt=O3
	.text
	.amdgcn_target "amdgcn-amd-amdhsa--gfx950"
	.amdhsa_code_object_version 6
	.protected	bluestein_single_back_len320_dim1_sp_op_CI_CI ; -- Begin function bluestein_single_back_len320_dim1_sp_op_CI_CI
	.globl	bluestein_single_back_len320_dim1_sp_op_CI_CI
	.p2align	8
	.type	bluestein_single_back_len320_dim1_sp_op_CI_CI,@function
bluestein_single_back_len320_dim1_sp_op_CI_CI: ; @bluestein_single_back_len320_dim1_sp_op_CI_CI
; %bb.0:
	s_load_dwordx4 s[12:15], s[0:1], 0x28
	v_lshrrev_b32_e32 v1, 4, v0
	v_lshl_or_b32 v40, s2, 2, v1
	v_mov_b32_e32 v41, 0
	s_waitcnt lgkmcnt(0)
	v_cmp_gt_u64_e32 vcc, s[12:13], v[40:41]
	s_and_saveexec_b64 s[2:3], vcc
	s_cbranch_execz .LBB0_2
; %bb.1:
	s_load_dwordx4 s[4:7], s[0:1], 0x18
	s_load_dwordx4 s[8:11], s[0:1], 0x0
	v_mov_b32_e32 v2, s14
	v_mov_b32_e32 v3, s15
	v_and_b32_e32 v121, 15, v0
	s_waitcnt lgkmcnt(0)
	s_load_dwordx4 s[12:15], s[4:5], 0x0
	s_add_u32 s16, s8, 0xa00
	v_lshlrev_b32_e32 v42, 3, v121
	s_addc_u32 s17, s9, 0
	global_load_dwordx2 v[96:97], v42, s[8:9]
	s_waitcnt lgkmcnt(0)
	v_mad_u64_u32 v[4:5], s[2:3], s14, v40, 0
	v_mov_b32_e32 v6, v5
	v_mad_u64_u32 v[6:7], s[2:3], s15, v40, v[6:7]
	v_mov_b32_e32 v5, v6
	v_mad_u64_u32 v[6:7], s[2:3], s12, v121, 0
	v_mov_b32_e32 v8, v7
	v_mad_u64_u32 v[8:9], s[2:3], s13, v121, v[8:9]
	v_mov_b32_e32 v7, v8
	v_lshl_add_u64 v[2:3], v[4:5], 3, v[2:3]
	v_lshl_add_u64 v[2:3], v[6:7], 3, v[2:3]
	global_load_dwordx2 v[4:5], v[2:3], off
	s_lshl_b64 s[2:3], s[12:13], 8
	v_lshl_add_u64 v[2:3], v[2:3], 0, s[2:3]
	global_load_dwordx2 v[94:95], v42, s[8:9] offset:256
	global_load_dwordx2 v[6:7], v[2:3], off
	v_lshl_add_u64 v[2:3], v[2:3], 0, s[2:3]
	global_load_dwordx2 v[90:91], v42, s[8:9] offset:512
	global_load_dwordx2 v[8:9], v[2:3], off
	global_load_dwordx2 v[88:89], v42, s[8:9] offset:768
	v_lshl_add_u64 v[2:3], v[2:3], 0, s[2:3]
	global_load_dwordx2 v[10:11], v[2:3], off
	global_load_dwordx2 v[84:85], v42, s[8:9] offset:1024
	v_lshl_add_u64 v[2:3], v[2:3], 0, s[2:3]
	global_load_dwordx2 v[12:13], v[2:3], off
	v_lshl_add_u64 v[2:3], v[2:3], 0, s[2:3]
	global_load_dwordx2 v[82:83], v42, s[8:9] offset:1280
	global_load_dwordx2 v[98:99], v42, s[8:9] offset:1536
	;; [unrolled: 1-line block ×3, first 2 shown]
	global_load_dwordx2 v[14:15], v[2:3], off
	v_lshl_add_u64 v[2:3], v[2:3], 0, s[2:3]
	global_load_dwordx2 v[16:17], v[2:3], off
	v_lshl_add_u64 v[2:3], v[2:3], 0, s[2:3]
	;; [unrolled: 2-line block ×3, first 2 shown]
	s_load_dwordx4 s[4:7], s[6:7], 0x0
	global_load_dwordx2 v[86:87], v42, s[8:9] offset:2048
	global_load_dwordx2 v[78:79], v42, s[8:9] offset:2304
	global_load_dwordx2 v[20:21], v[2:3], off
	global_load_dwordx2 v[72:73], v42, s[8:9] offset:384
	global_load_dwordx2 v[80:81], v42, s[8:9] offset:128
	;; [unrolled: 1-line block ×3, first 2 shown]
	v_lshl_add_u64 v[2:3], v[2:3], 0, s[2:3]
	global_load_dwordx2 v[24:25], v[2:3], off
	v_mov_b32_e32 v117, 0xfffff780
	s_mulk_i32 s13, 0xf780
	s_sub_i32 s14, s13, s12
	v_mad_u64_u32 v[2:3], s[12:13], s12, v117, v[2:3]
	v_add_u32_e32 v3, s14, v3
	global_load_dwordx2 v[26:27], v[2:3], off
	global_load_dwordx2 v[76:77], v42, s[8:9] offset:640
	global_load_dwordx2 v[60:61], v42, s[8:9] offset:1408
	;; [unrolled: 1-line block ×3, first 2 shown]
	v_lshl_add_u64 v[2:3], v[2:3], 0, s[2:3]
	global_load_dwordx2 v[28:29], v[2:3], off
	global_load_dwordx2 v[62:63], v42, s[8:9] offset:1920
	global_load_dwordx2 v[64:65], v42, s[8:9] offset:1664
	v_lshl_add_u64 v[2:3], v[2:3], 0, s[2:3]
	global_load_dwordx2 v[30:31], v[2:3], off
	v_lshl_add_u64 v[2:3], v[2:3], 0, s[2:3]
	global_load_dwordx2 v[32:33], v[2:3], off
	;; [unrolled: 2-line block ×3, first 2 shown]
	v_mul_u32_u24_e32 v43, 0x140, v1
	v_lshl_add_u64 v[2:3], v[2:3], 0, s[2:3]
	v_or_b32_e32 v1, v43, v121
	global_load_dwordx2 v[36:37], v[2:3], off
	v_lshlrev_b32_e32 v115, 3, v1
	v_lshl_add_u64 v[2:3], v[2:3], 0, s[2:3]
	global_load_dwordx2 v[38:39], v[2:3], off
	v_lshl_add_u64 v[2:3], v[2:3], 0, s[2:3]
	v_lshl_or_b32 v113, v43, 3, v42
	v_add_u32_e32 v125, 0x800, v113
	s_waitcnt lgkmcnt(0)
	v_mad_u64_u32 v[100:101], s[12:13], s6, v40, 0
	s_mov_b32 s12, 0x3f737871
	s_mov_b32 s6, 0x3e9e377a
	;; [unrolled: 1-line block ×6, first 2 shown]
	v_or_b32_e32 v23, 16, v121
	v_mov_b32_e32 v22, v101
	v_cmp_gt_u32_e32 vcc, 10, v121
	v_add_u32_e32 v101, 0x800, v115
	s_load_dwordx2 s[0:1], s[0:1], 0x38
	s_waitcnt vmcnt(33)
	v_mul_f32_e32 v44, v5, v97
	v_mul_f32_e32 v1, v4, v97
	v_fmac_f32_e32 v44, v4, v96
	v_fma_f32 v45, v5, v96, -v1
	s_waitcnt vmcnt(31)
	v_mul_f32_e32 v4, v7, v95
	v_mul_f32_e32 v1, v6, v95
	v_fmac_f32_e32 v4, v6, v94
	v_fma_f32 v5, v7, v94, -v1
	ds_write_b64 v115, v[44:45]
	s_waitcnt vmcnt(29)
	v_mul_f32_e32 v6, v9, v91
	ds_write_b64 v115, v[4:5] offset:256
	v_mul_f32_e32 v1, v8, v91
	global_load_dwordx2 v[4:5], v[2:3], off
	v_lshl_add_u64 v[2:3], v[2:3], 0, s[2:3]
	v_fmac_f32_e32 v6, v8, v90
	v_fma_f32 v7, v9, v90, -v1
	global_load_dwordx2 v[8:9], v[2:3], off
	global_load_dwordx2 v[66:67], v42, s[8:9] offset:2432
	global_load_dwordx2 v[68:69], v42, s[8:9] offset:2176
	v_lshl_add_u64 v[2:3], v[2:3], 0, s[2:3]
	global_load_dwordx2 v[2:3], v[2:3], off
	ds_write_b64 v113, v[6:7] offset:512
	s_waitcnt vmcnt(32)
	v_mul_f32_e32 v6, v11, v89
	v_mul_f32_e32 v1, v10, v89
	v_fmac_f32_e32 v6, v10, v88
	v_fma_f32 v7, v11, v88, -v1
	ds_write_b64 v113, v[6:7] offset:768
	s_waitcnt vmcnt(30)
	v_mul_f32_e32 v6, v13, v85
	v_mul_f32_e32 v1, v12, v85
	v_fmac_f32_e32 v6, v12, v84
	v_fma_f32 v7, v13, v84, -v1
	;; [unrolled: 6-line block ×14, first 2 shown]
	ds_write_b64 v113, v[6:7] offset:1664
	s_mov_b32 s2, 0x3f167918
	s_mov_b32 s21, s2
	s_waitcnt vmcnt(4)
	v_mul_f32_e32 v6, v5, v63
	v_mul_f32_e32 v1, v4, v63
	v_fmac_f32_e32 v6, v4, v62
	v_fma_f32 v7, v5, v62, -v1
	s_waitcnt vmcnt(1)
	v_mul_f32_e32 v4, v9, v69
	v_mul_f32_e32 v1, v8, v69
	v_fmac_f32_e32 v4, v8, v68
	v_fma_f32 v5, v9, v68, -v1
	ds_write_b64 v113, v[4:5] offset:2176
	s_waitcnt vmcnt(0)
	v_mul_f32_e32 v4, v3, v67
	v_mul_f32_e32 v1, v2, v67
	v_fmac_f32_e32 v4, v2, v66
	v_fma_f32 v5, v3, v66, -v1
	ds_write_b64 v113, v[6:7] offset:1920
	ds_write_b64 v113, v[4:5] offset:2432
	s_waitcnt lgkmcnt(0)
	; wave barrier
	s_waitcnt lgkmcnt(0)
	ds_read2_b64 v[24:27], v115 offset1:16
	ds_read2_b64 v[2:5], v115 offset0:32 offset1:48
	ds_read2_b64 v[28:31], v113 offset0:64 offset1:80
	;; [unrolled: 1-line block ×6, first 2 shown]
	ds_read2_b64 v[44:47], v125 offset1:16
	ds_read2_b64 v[14:17], v113 offset0:224 offset1:240
	ds_read2_b64 v[18:21], v125 offset0:32 offset1:48
	v_mul_u32_u24_e32 v1, 10, v121
	s_waitcnt lgkmcnt(5)
	v_pk_add_f32 v[58:59], v[28:29], v[32:33] neg_lo:[0,1] neg_hi:[0,1]
	s_waitcnt lgkmcnt(2)
	v_pk_add_f32 v[50:51], v[28:29], v[44:45] neg_lo:[0,1] neg_hi:[0,1]
	v_pk_add_f32 v[48:49], v[32:33], v[36:37]
	v_pk_mul_f32 v[52:53], v[50:51], s[12:13] op_sel_hi:[1,0]
	v_pk_fma_f32 v[48:49], v[48:49], 0.5, v[24:25] op_sel_hi:[1,0,1] neg_lo:[1,0,0] neg_hi:[1,0,0]
	v_pk_add_f32 v[54:55], v[32:33], v[36:37] neg_lo:[0,1] neg_hi:[0,1]
	v_pk_add_f32 v[102:103], v[44:45], v[36:37] neg_lo:[0,1] neg_hi:[0,1]
	v_pk_mul_f32 v[56:57], v[54:55], s[2:3] op_sel_hi:[1,0]
	v_pk_add_f32 v[58:59], v[58:59], v[102:103]
	v_pk_add_f32 v[102:103], v[48:49], v[52:53] op_sel:[0,1] op_sel_hi:[1,0]
	v_pk_add_f32 v[48:49], v[48:49], v[52:53] op_sel:[0,1] op_sel_hi:[1,0] neg_lo:[0,1] neg_hi:[0,1]
	v_pk_add_f32 v[52:53], v[102:103], v[56:57] op_sel:[0,1] op_sel_hi:[1,0]
	v_pk_add_f32 v[48:49], v[48:49], v[56:57] op_sel:[0,1] op_sel_hi:[1,0] neg_lo:[0,1] neg_hi:[0,1]
	v_pk_add_f32 v[56:57], v[32:33], v[28:29] neg_lo:[0,1] neg_hi:[0,1]
	v_pk_add_f32 v[102:103], v[36:37], v[44:45] neg_lo:[0,1] neg_hi:[0,1]
	s_waitcnt lgkmcnt(1)
	v_pk_add_f32 v[104:105], v[10:11], v[14:15] neg_lo:[0,1] neg_hi:[0,1]
	s_waitcnt lgkmcnt(0)
	v_pk_add_f32 v[106:107], v[6:7], v[18:19]
	v_pk_add_f32 v[56:57], v[56:57], v[102:103]
	v_pk_add_f32 v[102:103], v[6:7], v[18:19] neg_lo:[0,1] neg_hi:[0,1]
	v_pk_fma_f32 v[106:107], v[106:107], 0.5, v[2:3] op_sel_hi:[1,0,1] neg_lo:[1,0,0] neg_hi:[1,0,0]
	v_pk_mul_f32 v[108:109], v[104:105], s[12:13] op_sel_hi:[1,0]
	v_pk_add_f32 v[118:119], v[10:11], v[6:7] neg_lo:[0,1] neg_hi:[0,1]
	v_pk_add_f32 v[122:123], v[14:15], v[18:19] neg_lo:[0,1] neg_hi:[0,1]
	v_pk_mul_f32 v[110:111], v[102:103], s[2:3] op_sel_hi:[1,0]
	v_pk_add_f32 v[118:119], v[118:119], v[122:123]
	v_pk_add_f32 v[122:123], v[106:107], v[108:109] op_sel:[0,1] op_sel_hi:[1,0] neg_lo:[0,1] neg_hi:[0,1]
	v_pk_add_f32 v[106:107], v[106:107], v[108:109] op_sel:[0,1] op_sel_hi:[1,0]
	v_pk_add_f32 v[108:109], v[122:123], v[110:111] op_sel:[0,1] op_sel_hi:[1,0]
	v_pk_add_f32 v[106:107], v[106:107], v[110:111] op_sel:[0,1] op_sel_hi:[1,0] neg_lo:[0,1] neg_hi:[0,1]
	v_mov_b32_e32 v110, v108
	v_mov_b32_e32 v111, v107
	v_pk_fma_f32 v[110:111], v[118:119], s[6:7], v[110:111] op_sel_hi:[1,0,1]
	v_pk_mul_f32 v[54:55], v[54:55], s[12:13] op_sel_hi:[1,0]
	v_pk_mul_f32 v[122:123], v[110:111], s[12:13] op_sel_hi:[1,0]
	v_mov_b32_e32 v107, v109
	v_pk_fma_f32 v[126:127], v[110:111], s[6:7], v[122:123] op_sel:[0,0,1] op_sel_hi:[1,0,0]
	v_pk_fma_f32 v[110:111], v[110:111], s[6:7], v[122:123] op_sel:[0,0,1] op_sel_hi:[1,0,0] neg_lo:[0,0,1] neg_hi:[0,0,1]
	v_pk_add_f32 v[122:123], v[28:29], v[44:45]
	v_mov_b32_e32 v127, v111
	v_pk_fma_f32 v[122:123], v[122:123], 0.5, v[24:25] op_sel_hi:[1,0,1] neg_lo:[1,0,0] neg_hi:[1,0,0]
	v_pk_add_f32 v[24:25], v[24:25], v[28:29]
	v_pk_add_f32 v[110:111], v[122:123], v[54:55] op_sel:[0,1] op_sel_hi:[1,0] neg_lo:[0,1] neg_hi:[0,1]
	v_pk_add_f32 v[24:25], v[24:25], v[32:33]
	v_pk_add_f32 v[54:55], v[122:123], v[54:55] op_sel:[0,1] op_sel_hi:[1,0]
	v_pk_add_f32 v[24:25], v[24:25], v[36:37]
	v_pk_add_f32 v[36:37], v[2:3], v[6:7]
	v_pk_add_f32 v[6:7], v[6:7], v[10:11] neg_lo:[0,1] neg_hi:[0,1]
	v_pk_add_f32 v[36:37], v[36:37], v[10:11]
	v_pk_add_f32 v[10:11], v[10:11], v[14:15]
	;; [unrolled: 1-line block ×3, first 2 shown]
	v_pk_fma_f32 v[2:3], v[10:11], 0.5, v[2:3] op_sel_hi:[1,0,1] neg_lo:[1,0,0] neg_hi:[1,0,0]
	v_pk_add_f32 v[36:37], v[36:37], v[18:19]
	v_pk_add_f32 v[18:19], v[18:19], v[14:15] neg_lo:[0,1] neg_hi:[0,1]
	v_pk_mul_f32 v[14:15], v[102:103], s[12:13] op_sel_hi:[1,0]
	v_pk_add_f32 v[6:7], v[6:7], v[18:19]
	v_pk_add_f32 v[18:19], v[2:3], v[14:15] op_sel:[0,1] op_sel_hi:[1,0]
	v_pk_add_f32 v[2:3], v[2:3], v[14:15] op_sel:[0,1] op_sel_hi:[1,0] neg_lo:[0,1] neg_hi:[0,1]
	v_pk_mul_f32 v[14:15], v[104:105], s[2:3] op_sel_hi:[1,0]
	v_pk_mul_f32 v[28:29], v[50:51], s[2:3] op_sel_hi:[1,0]
	v_pk_add_f32 v[18:19], v[14:15], v[18:19] op_sel:[1,0] op_sel_hi:[0,1]
	v_pk_add_f32 v[2:3], v[2:3], v[14:15] op_sel:[0,1] op_sel_hi:[1,0] neg_lo:[0,1] neg_hi:[0,1]
	v_pk_fma_f32 v[50:51], v[118:119], s[6:7], v[106:107] op_sel_hi:[1,0,1]
	v_pk_fma_f32 v[14:15], v[6:7], s[6:7], v[2:3] op_sel_hi:[1,0,1]
	v_mov_b32_e32 v3, v19
	v_pk_fma_f32 v[2:3], v[6:7], s[6:7], v[2:3] op_sel_hi:[1,0,1]
	v_pk_fma_f32 v[18:19], v[6:7], s[6:7], v[18:19] op_sel_hi:[1,0,1]
	v_pk_mul_f32 v[6:7], v[2:3], s[14:15] op_sel_hi:[1,0]
	s_mov_b32 s15, s2
	v_pk_add_f32 v[24:25], v[24:25], v[44:45]
	v_pk_add_f32 v[32:33], v[54:55], v[28:29] op_sel:[0,1] op_sel_hi:[1,0] neg_lo:[0,1] neg_hi:[0,1]
	v_pk_add_f32 v[28:29], v[110:111], v[28:29] op_sel:[0,1] op_sel_hi:[1,0]
	v_mov_b32_e32 v45, v49
	v_pk_mul_f32 v[54:55], v[50:51], s[6:7] op_sel_hi:[1,0]
	v_mov_b32_e32 v49, v53
	v_pk_fma_f32 v[2:3], v[2:3], s[20:21], v[6:7] op_sel:[0,0,1] op_sel_hi:[1,1,0] neg_lo:[0,0,1] neg_hi:[0,0,1]
	v_pk_mul_f32 v[6:7], v[18:19], s[14:15] op_sel_hi:[0,1]
	s_mov_b32 s3, s14
	v_pk_fma_f32 v[106:107], v[50:51], s[18:19], v[54:55] op_sel:[0,0,1] op_sel_hi:[1,1,0] neg_lo:[0,0,1] neg_hi:[0,0,1]
	v_mov_b32_e32 v50, v28
	v_mov_b32_e32 v51, v33
	v_pk_fma_f32 v[10:11], v[58:59], s[6:7], v[48:49] op_sel_hi:[1,0,1]
	v_pk_fma_f32 v[18:19], v[14:15], s[2:3], v[6:7] op_sel:[1,0,0]
	v_pk_fma_f32 v[6:7], v[14:15], s[2:3], v[6:7] op_sel:[1,0,0] neg_lo:[0,0,1] neg_hi:[0,0,1]
	v_mov_b32_e32 v44, v52
	v_pk_fma_f32 v[108:109], v[56:57], s[6:7], v[50:51] op_sel_hi:[1,0,1]
	v_mov_b32_e32 v33, v29
	v_mov_b32_e32 v19, v7
	v_pk_add_f32 v[6:7], v[10:11], v[2:3] op_sel:[1,0] op_sel_hi:[0,1]
	v_pk_add_f32 v[10:11], v[10:11], v[2:3] op_sel:[1,0] op_sel_hi:[0,1] neg_lo:[0,1] neg_hi:[0,1]
	v_pk_fma_f32 v[44:45], v[58:59], s[6:7], v[44:45] op_sel_hi:[1,0,1]
	v_pk_fma_f32 v[28:29], v[56:57], s[6:7], v[32:33] op_sel_hi:[1,0,1]
	v_pk_add_f32 v[52:53], v[108:109], v[126:127]
	v_pk_add_f32 v[58:59], v[108:109], v[126:127] neg_lo:[0,1] neg_hi:[0,1]
	v_mov_b32_e32 v102, v7
	v_mov_b32_e32 v103, v6
	;; [unrolled: 1-line block ×4, first 2 shown]
	v_pk_add_f32 v[6:7], v[34:35], v[38:39]
	v_pk_add_f32 v[10:11], v[30:31], v[46:47] neg_lo:[0,1] neg_hi:[0,1]
	v_pk_add_f32 v[48:49], v[24:25], v[36:37]
	v_pk_add_f32 v[54:55], v[28:29], v[106:107] op_sel:[0,1] op_sel_hi:[1,0]
	v_pk_add_f32 v[50:51], v[44:45], v[18:19]
	v_pk_add_f32 v[56:57], v[44:45], v[18:19] neg_lo:[0,1] neg_hi:[0,1]
	v_pk_add_f32 v[104:105], v[24:25], v[36:37] neg_lo:[0,1] neg_hi:[0,1]
	v_pk_add_f32 v[106:107], v[28:29], v[106:107] op_sel:[0,1] op_sel_hi:[1,0] neg_lo:[0,1] neg_hi:[0,1]
	v_pk_fma_f32 v[6:7], v[6:7], 0.5, v[26:27] op_sel_hi:[1,0,1] neg_lo:[1,0,0] neg_hi:[1,0,0]
	v_pk_mul_f32 v[24:25], v[10:11], s[12:13] op_sel_hi:[1,0]
	v_pk_add_f32 v[28:29], v[34:35], v[38:39] neg_lo:[0,1] neg_hi:[0,1]
	v_pk_add_f32 v[36:37], v[30:31], v[34:35] neg_lo:[0,1] neg_hi:[0,1]
	;; [unrolled: 1-line block ×3, first 2 shown]
	v_pk_mul_f32 v[32:33], v[28:29], s[2:3] op_sel_hi:[1,0]
	v_pk_add_f32 v[36:37], v[36:37], v[44:45]
	v_pk_add_f32 v[44:45], v[6:7], v[24:25] op_sel:[0,1] op_sel_hi:[1,0]
	v_pk_add_f32 v[6:7], v[6:7], v[24:25] op_sel:[0,1] op_sel_hi:[1,0] neg_lo:[0,1] neg_hi:[0,1]
	v_pk_add_f32 v[2:3], v[26:27], v[30:31]
	v_pk_add_f32 v[6:7], v[6:7], v[32:33] op_sel:[0,1] op_sel_hi:[1,0] neg_lo:[0,1] neg_hi:[0,1]
	v_pk_add_f32 v[32:33], v[44:45], v[32:33] op_sel:[0,1] op_sel_hi:[1,0]
	v_mov_b32_e32 v25, v7
	v_mov_b32_e32 v24, v32
	v_pk_add_f32 v[2:3], v[2:3], v[34:35]
	v_pk_fma_f32 v[44:45], v[36:37], s[6:7], v[24:25] op_sel_hi:[1,0,1]
	v_pk_add_f32 v[24:25], v[30:31], v[46:47]
	v_add_lshl_u32 v135, v43, v1, 3
	v_pk_add_f32 v[2:3], v[2:3], v[38:39]
	v_pk_fma_f32 v[24:25], v[24:25], 0.5, v[26:27] op_sel_hi:[1,0,1] neg_lo:[1,0,0] neg_hi:[1,0,0]
	v_pk_add_f32 v[26:27], v[34:35], v[30:31] neg_lo:[0,1] neg_hi:[0,1]
	v_pk_add_f32 v[30:31], v[38:39], v[46:47] neg_lo:[0,1] neg_hi:[0,1]
	;; [unrolled: 1-line block ×3, first 2 shown]
	v_pk_add_f32 v[38:39], v[8:9], v[20:21]
	v_pk_add_f32 v[14:15], v[2:3], v[46:47]
	s_waitcnt lgkmcnt(0)
	; wave barrier
	ds_write_b128 v135, v[52:55] offset:16
	ds_write_b128 v135, v[48:51]
	v_pk_add_f32 v[26:27], v[26:27], v[30:31]
	v_pk_add_f32 v[30:31], v[8:9], v[20:21] neg_lo:[0,1] neg_hi:[0,1]
	v_pk_fma_f32 v[38:39], v[38:39], 0.5, v[4:5] op_sel_hi:[1,0,1] neg_lo:[1,0,0] neg_hi:[1,0,0]
	v_pk_mul_f32 v[46:47], v[34:35], s[12:13] op_sel_hi:[1,0]
	v_pk_add_f32 v[50:51], v[12:13], v[8:9] neg_lo:[0,1] neg_hi:[0,1]
	v_pk_add_f32 v[52:53], v[16:17], v[20:21] neg_lo:[0,1] neg_hi:[0,1]
	v_pk_mul_f32 v[48:49], v[30:31], s[2:3] op_sel_hi:[1,0]
	v_pk_add_f32 v[50:51], v[50:51], v[52:53]
	v_pk_add_f32 v[52:53], v[38:39], v[46:47] op_sel:[0,1] op_sel_hi:[1,0] neg_lo:[0,1] neg_hi:[0,1]
	v_pk_add_f32 v[38:39], v[38:39], v[46:47] op_sel:[0,1] op_sel_hi:[1,0]
	v_pk_add_f32 v[46:47], v[52:53], v[48:49] op_sel:[0,1] op_sel_hi:[1,0]
	v_pk_add_f32 v[38:39], v[38:39], v[48:49] op_sel:[0,1] op_sel_hi:[1,0] neg_lo:[0,1] neg_hi:[0,1]
	v_mov_b32_e32 v48, v46
	v_mov_b32_e32 v49, v39
	v_pk_fma_f32 v[48:49], v[50:51], s[6:7], v[48:49] op_sel_hi:[1,0,1]
	v_pk_mul_f32 v[28:29], v[28:29], s[12:13] op_sel_hi:[1,0]
	v_pk_mul_f32 v[52:53], v[48:49], s[12:13] op_sel_hi:[1,0]
	;; [unrolled: 1-line block ×3, first 2 shown]
	v_pk_fma_f32 v[54:55], v[48:49], s[6:7], v[52:53] op_sel:[0,0,1] op_sel_hi:[1,0,0]
	v_pk_fma_f32 v[48:49], v[48:49], s[6:7], v[52:53] op_sel:[0,0,1] op_sel_hi:[1,0,0] neg_lo:[0,0,1] neg_hi:[0,0,1]
	v_mov_b32_e32 v39, v47
	v_mov_b32_e32 v55, v49
	v_pk_add_f32 v[48:49], v[24:25], v[28:29] op_sel:[0,1] op_sel_hi:[1,0] neg_lo:[0,1] neg_hi:[0,1]
	v_pk_add_f32 v[24:25], v[24:25], v[28:29] op_sel:[0,1] op_sel_hi:[1,0]
	v_pk_fma_f32 v[38:39], v[50:51], s[6:7], v[38:39] op_sel_hi:[1,0,1]
	v_pk_add_f32 v[28:29], v[24:25], v[10:11] op_sel:[0,1] op_sel_hi:[1,0] neg_lo:[0,1] neg_hi:[0,1]
	v_pk_add_f32 v[10:11], v[48:49], v[10:11] op_sel:[0,1] op_sel_hi:[1,0]
	v_mov_b32_e32 v25, v29
	v_mov_b32_e32 v24, v10
	v_pk_mul_f32 v[46:47], v[38:39], s[6:7] op_sel_hi:[1,0]
	v_mov_b32_e32 v29, v11
	v_mul_u32_u24_e32 v1, 10, v23
	v_pk_fma_f32 v[48:49], v[26:27], s[6:7], v[24:25] op_sel_hi:[1,0,1]
	v_pk_fma_f32 v[38:39], v[38:39], s[18:19], v[46:47] op_sel:[0,0,1] op_sel_hi:[1,1,0] neg_lo:[0,0,1] neg_hi:[0,0,1]
	v_pk_fma_f32 v[10:11], v[26:27], s[6:7], v[28:29] op_sel_hi:[1,0,1]
	v_add_lshl_u32 v133, v43, v1, 3
	v_pk_add_f32 v[2:3], v[4:5], v[8:9]
	v_pk_add_f32 v[24:25], v[48:49], v[54:55]
	v_pk_add_f32 v[26:27], v[10:11], v[38:39] op_sel:[0,1] op_sel_hi:[1,0]
	v_pk_add_f32 v[2:3], v[2:3], v[12:13]
	ds_write_b128 v135, v[102:105] offset:32
	ds_write_b128 v135, v[56:59] offset:48
	;; [unrolled: 1-line block ×4, first 2 shown]
	v_pk_add_f32 v[24:25], v[12:13], v[16:17]
	v_pk_add_f32 v[8:9], v[8:9], v[12:13] neg_lo:[0,1] neg_hi:[0,1]
	v_pk_add_f32 v[12:13], v[20:21], v[16:17] neg_lo:[0,1] neg_hi:[0,1]
	v_pk_add_f32 v[2:3], v[2:3], v[16:17]
	v_pk_fma_f32 v[4:5], v[24:25], 0.5, v[4:5] op_sel_hi:[1,0,1] neg_lo:[1,0,0] neg_hi:[1,0,0]
	v_pk_add_f32 v[8:9], v[8:9], v[12:13]
	v_pk_mul_f32 v[12:13], v[30:31], s[12:13] op_sel_hi:[1,0]
	v_pk_add_f32 v[18:19], v[2:3], v[20:21]
	v_pk_add_f32 v[16:17], v[4:5], v[12:13] op_sel:[0,1] op_sel_hi:[1,0]
	v_pk_mul_f32 v[20:21], v[34:35], s[2:3] op_sel_hi:[1,0]
	v_pk_add_f32 v[4:5], v[4:5], v[12:13] op_sel:[0,1] op_sel_hi:[1,0] neg_lo:[0,1] neg_hi:[0,1]
	v_pk_add_f32 v[16:17], v[20:21], v[16:17] op_sel:[1,0] op_sel_hi:[0,1]
	v_pk_add_f32 v[4:5], v[4:5], v[20:21] op_sel:[0,1] op_sel_hi:[1,0] neg_lo:[0,1] neg_hi:[0,1]
	v_pk_fma_f32 v[24:25], v[8:9], s[6:7], v[16:17] op_sel_hi:[1,0,1]
	v_pk_fma_f32 v[12:13], v[8:9], s[6:7], v[4:5] op_sel_hi:[1,0,1]
	v_mov_b32_e32 v5, v17
	v_pk_fma_f32 v[4:5], v[8:9], s[6:7], v[4:5] op_sel_hi:[1,0,1]
	v_mov_b32_e32 v7, v33
	v_pk_mul_f32 v[8:9], v[4:5], s[14:15] op_sel_hi:[1,0]
	v_pk_fma_f32 v[6:7], v[36:37], s[6:7], v[6:7] op_sel_hi:[1,0,1]
	v_pk_fma_f32 v[8:9], v[4:5], s[20:21], v[8:9] op_sel:[0,0,1] op_sel_hi:[1,1,0] neg_lo:[0,0,1] neg_hi:[0,0,1]
	v_pk_mul_f32 v[4:5], v[24:25], s[14:15] op_sel_hi:[0,1]
	v_pk_fma_f32 v[16:17], v[12:13], s[2:3], v[4:5] op_sel:[1,0,0]
	v_pk_fma_f32 v[4:5], v[12:13], s[2:3], v[4:5] op_sel:[1,0,0] neg_lo:[0,0,1] neg_hi:[0,0,1]
	v_pk_add_f32 v[2:3], v[14:15], v[18:19]
	v_mov_b32_e32 v17, v5
	v_pk_add_f32 v[4:5], v[44:45], v[16:17]
	v_pk_add_f32 v[12:13], v[6:7], v[8:9] op_sel:[1,0] op_sel_hi:[0,1]
	ds_write_b128 v133, v[2:5]
	v_pk_add_f32 v[4:5], v[14:15], v[18:19] neg_lo:[0,1] neg_hi:[0,1]
	v_mov_b32_e32 v2, v13
	v_mov_b32_e32 v3, v12
	ds_write_b128 v133, v[2:5] offset:32
	v_pk_add_f32 v[2:3], v[44:45], v[16:17] neg_lo:[0,1] neg_hi:[0,1]
	v_pk_add_f32 v[4:5], v[48:49], v[54:55] neg_lo:[0,1] neg_hi:[0,1]
	v_pk_add_f32 v[6:7], v[6:7], v[8:9] op_sel:[1,0] op_sel_hi:[0,1] neg_lo:[0,1] neg_hi:[0,1]
	ds_write_b128 v133, v[2:5] offset:48
	v_pk_add_f32 v[2:3], v[10:11], v[38:39] op_sel:[0,1] op_sel_hi:[1,0] neg_lo:[0,1] neg_hi:[0,1]
	v_mov_b32_e32 v4, v7
	v_mov_b32_e32 v5, v6
	ds_write_b128 v133, v[2:5] offset:64
	v_or_b32_e32 v3, 48, v0
	v_or_b32_e32 v0, 64, v121
	v_mul_lo_u16_e32 v1, 0x67, v0
	v_lshrrev_b16_e32 v134, 10, v1
	v_mul_lo_u16_e32 v1, 10, v134
	v_sub_u16_e32 v0, v0, v1
	v_and_b32_e32 v160, 0xff, v0
	v_mov_b32_e32 v2, 10
	v_mul_lo_u16_e32 v132, 26, v3
	v_mad_u64_u32 v[0:1], s[18:19], v160, 24, s[10:11]
	s_waitcnt lgkmcnt(0)
	; wave barrier
	s_waitcnt lgkmcnt(0)
	global_load_dwordx4 v[12:15], v[0:1], off
	global_load_dwordx2 v[104:105], v[0:1], off offset:16
	v_mul_lo_u16_sdwa v0, v132, v2 dst_sel:DWORD dst_unused:UNUSED_PAD src0_sel:BYTE_1 src1_sel:DWORD
	v_sub_u16_e32 v0, v3, v0
	v_and_b32_e32 v162, 0xff, v0
	v_mad_u64_u32 v[102:103], s[18:19], s7, v40, v[22:23]
	v_or_b32_e32 v40, 32, v121
	v_mad_u64_u32 v[0:1], s[18:19], v162, 24, s[10:11]
	v_mul_lo_u16_e32 v161, 26, v40
	global_load_dwordx4 v[8:11], v[0:1], off
	global_load_dwordx2 v[106:107], v[0:1], off offset:16
	v_mul_lo_u16_sdwa v0, v161, v2 dst_sel:DWORD dst_unused:UNUSED_PAD src0_sel:BYTE_1 src1_sel:DWORD
	v_sub_u16_e32 v0, v40, v0
	v_and_b32_e32 v163, 0xff, v0
	v_mad_u64_u32 v[16:17], s[18:19], v163, 24, s[10:11]
	global_load_dwordx4 v[4:7], v[16:17], off
	v_mul_lo_u16_e32 v0, 26, v23
	v_lshrrev_b16_e32 v164, 8, v0
	v_mul_lo_u16_e32 v0, 10, v164
	v_sub_u16_e32 v165, v23, v0
	v_and_b32_e32 v0, 0xff, v165
	v_mad_u64_u32 v[18:19], s[18:19], v0, 24, s[10:11]
	global_load_dwordx4 v[0:3], v[18:19], off
	global_load_dwordx2 v[110:111], v[16:17], off offset:16
	global_load_dwordx2 v[108:109], v[18:19], off offset:16
	v_add_u32_e32 v16, -10, v121
	v_cndmask_b32_e32 v103, v16, v121, vcc
	v_mul_hi_i32_i24_e32 v17, 24, v103
	v_mul_i32_i24_e32 v16, 24, v103
	v_lshl_add_u64 v[16:17], s[10:11], 0, v[16:17]
	global_load_dwordx4 v[24:27], v[16:17], off
	global_load_dwordx2 v[118:119], v[16:17], off offset:16
	ds_read2_b64 v[16:19], v115 offset0:128 offset1:144
	ds_read2_b64 v[20:23], v101 offset0:32 offset1:48
	v_cmp_lt_u32_e32 vcc, 9, v121
	s_waitcnt vmcnt(9) lgkmcnt(1)
	v_pk_mul_f32 v[28:29], v[18:19], v[12:13] op_sel:[0,1]
	s_nop 0
	v_pk_fma_f32 v[32:33], v[18:19], v[12:13], v[28:29] op_sel:[0,0,1] op_sel_hi:[1,1,0] neg_lo:[0,0,1] neg_hi:[0,0,1]
	v_pk_fma_f32 v[34:35], v[18:19], v[12:13], v[28:29] op_sel:[0,0,1] op_sel_hi:[1,0,0]
	ds_read2_b64 v[28:31], v115 offset0:192 offset1:208
	s_waitcnt vmcnt(8) lgkmcnt(1)
	v_pk_mul_f32 v[18:19], v[22:23], v[104:105] op_sel:[0,1]
	v_mov_b32_e32 v124, v15
	v_pk_fma_f32 v[36:37], v[22:23], v[104:105], v[18:19] op_sel:[0,0,1] op_sel_hi:[1,1,0] neg_lo:[0,0,1] neg_hi:[0,0,1]
	v_pk_fma_f32 v[38:39], v[22:23], v[104:105], v[18:19] op_sel:[0,0,1] op_sel_hi:[1,0,0]
	v_mov_b32_e32 v33, v35
	v_mov_b32_e32 v37, v39
	s_waitcnt vmcnt(7)
	v_pk_mul_f32 v[18:19], v[16:17], v[8:9] op_sel:[0,1]
	v_mov_b32_e32 v112, v11
	v_pk_fma_f32 v[44:45], v[16:17], v[8:9], v[18:19] op_sel:[0,0,1] op_sel_hi:[1,1,0] neg_lo:[0,0,1] neg_hi:[0,0,1]
	v_pk_fma_f32 v[46:47], v[16:17], v[8:9], v[18:19] op_sel:[0,0,1] op_sel_hi:[1,0,0]
	s_waitcnt lgkmcnt(0)
	v_pk_mul_f32 v[16:17], v[30:31], v[112:113] op_sel_hi:[1,0]
	v_mov_b32_e32 v45, v47
	v_pk_fma_f32 v[48:49], v[30:31], v[10:11], v[16:17] op_sel:[0,0,1] op_sel_hi:[1,1,0] neg_lo:[0,0,1] neg_hi:[0,0,1]
	v_pk_fma_f32 v[50:51], v[30:31], v[10:11], v[16:17] op_sel:[0,0,1] op_sel_hi:[1,0,0]
	s_waitcnt vmcnt(6)
	v_pk_mul_f32 v[16:17], v[20:21], v[106:107] op_sel:[0,1]
	s_waitcnt vmcnt(5)
	v_mov_b32_e32 v114, v7
	v_pk_fma_f32 v[52:53], v[20:21], v[106:107], v[16:17] op_sel:[0,0,1] op_sel_hi:[1,1,0] neg_lo:[0,0,1] neg_hi:[0,0,1]
	v_pk_fma_f32 v[54:55], v[20:21], v[106:107], v[16:17] op_sel:[0,0,1] op_sel_hi:[1,0,0]
	ds_read2_b64 v[16:19], v115 offset0:96 offset1:112
	v_pk_mul_f32 v[20:21], v[28:29], v[114:115] op_sel_hi:[1,0]
	s_waitcnt vmcnt(4)
	v_mov_b32_e32 v120, v3
	v_pk_fma_f32 v[56:57], v[28:29], v[6:7], v[20:21] op_sel:[0,0,1] op_sel_hi:[1,1,0] neg_lo:[0,0,1] neg_hi:[0,0,1]
	v_pk_fma_f32 v[58:59], v[28:29], v[6:7], v[20:21] op_sel:[0,0,1] op_sel_hi:[1,0,0]
	ds_read2_b64 v[20:23], v101 offset1:16
	s_waitcnt lgkmcnt(1)
	v_pk_mul_f32 v[28:29], v[18:19], v[4:5] op_sel:[0,1]
	v_cndmask_b32_e64 v7, 0, 40, vcc
	v_pk_fma_f32 v[122:123], v[18:19], v[4:5], v[28:29] op_sel:[0,0,1] op_sel_hi:[1,1,0] neg_lo:[0,0,1] neg_hi:[0,0,1]
	v_pk_fma_f32 v[126:127], v[18:19], v[4:5], v[28:29] op_sel:[0,0,1] op_sel_hi:[1,0,0]
	v_pk_mul_f32 v[18:19], v[16:17], v[0:1] op_sel:[0,1]
	s_waitcnt vmcnt(1)
	v_mov_b32_e32 v116, v27
	v_pk_fma_f32 v[128:129], v[16:17], v[0:1], v[18:19] op_sel:[0,0,1] op_sel_hi:[1,1,0] neg_lo:[0,0,1] neg_hi:[0,0,1]
	v_pk_fma_f32 v[130:131], v[16:17], v[0:1], v[18:19] op_sel:[0,0,1] op_sel_hi:[1,0,0]
	s_waitcnt lgkmcnt(0)
	v_pk_mul_f32 v[16:17], v[22:23], v[110:111] op_sel:[0,1]
	ds_read2_b64 v[28:31], v115 offset0:64 offset1:80
	v_pk_fma_f32 v[136:137], v[22:23], v[110:111], v[16:17] op_sel:[0,0,1] op_sel_hi:[1,1,0] neg_lo:[0,0,1] neg_hi:[0,0,1]
	v_pk_fma_f32 v[138:139], v[22:23], v[110:111], v[16:17] op_sel:[0,0,1] op_sel_hi:[1,0,0]
	ds_read2_b64 v[16:19], v115 offset0:160 offset1:176
	v_pk_mul_f32 v[22:23], v[20:21], v[108:109] op_sel:[0,1]
	s_waitcnt lgkmcnt(1)
	v_pk_mul_f32 v[156:157], v[30:31], v[24:25] op_sel:[0,1]
	v_pk_fma_f32 v[140:141], v[20:21], v[108:109], v[22:23] op_sel:[0,0,1] op_sel_hi:[1,1,0] neg_lo:[0,0,1] neg_hi:[0,0,1]
	v_pk_fma_f32 v[142:143], v[20:21], v[108:109], v[22:23] op_sel:[0,0,1] op_sel_hi:[1,0,0]
	s_waitcnt lgkmcnt(0)
	v_pk_mul_f32 v[20:21], v[18:19], v[120:121] op_sel_hi:[1,0]
	v_pk_mul_f32 v[22:23], v[16:17], v[116:117] op_sel_hi:[1,0]
	v_pk_fma_f32 v[144:145], v[18:19], v[2:3], v[20:21] op_sel:[0,0,1] op_sel_hi:[1,1,0] neg_lo:[0,0,1] neg_hi:[0,0,1]
	v_pk_fma_f32 v[146:147], v[18:19], v[2:3], v[20:21] op_sel:[0,0,1] op_sel_hi:[1,0,0]
	ds_read2_b64 v[18:21], v115 offset0:224 offset1:240
	v_pk_fma_f32 v[148:149], v[16:17], v[26:27], v[22:23] op_sel:[0,0,1] op_sel_hi:[1,1,0] neg_lo:[0,0,1] neg_hi:[0,0,1]
	v_pk_fma_f32 v[22:23], v[16:17], v[26:27], v[22:23] op_sel:[0,0,1] op_sel_hi:[1,0,0]
	v_pk_fma_f32 v[158:159], v[30:31], v[24:25], v[156:157] op_sel:[0,0,1] op_sel_hi:[1,1,0] neg_lo:[0,0,1] neg_hi:[0,0,1]
	v_pk_fma_f32 v[30:31], v[30:31], v[24:25], v[156:157] op_sel:[0,0,1] op_sel_hi:[1,0,0]
	s_waitcnt lgkmcnt(0)
	v_pk_mul_f32 v[16:17], v[18:19], v[124:125] op_sel_hi:[1,0]
	v_mov_b32_e32 v159, v31
	v_pk_fma_f32 v[150:151], v[18:19], v[14:15], v[16:17] op_sel:[0,0,1] op_sel_hi:[1,1,0] neg_lo:[0,0,1] neg_hi:[0,0,1]
	v_pk_fma_f32 v[152:153], v[18:19], v[14:15], v[16:17] op_sel:[0,0,1] op_sel_hi:[1,0,0]
	s_waitcnt vmcnt(0)
	v_pk_mul_f32 v[16:17], v[20:21], v[118:119] op_sel:[0,1]
	v_mov_b32_e32 v149, v23
	v_pk_fma_f32 v[154:155], v[20:21], v[118:119], v[16:17] op_sel:[0,0,1] op_sel_hi:[1,1,0] neg_lo:[0,0,1] neg_hi:[0,0,1]
	v_pk_fma_f32 v[20:21], v[20:21], v[118:119], v[16:17] op_sel:[0,0,1] op_sel_hi:[1,0,0]
	ds_read2_b64 v[16:19], v115 offset1:16
	v_mov_b32_e32 v155, v21
	v_pk_add_f32 v[20:21], v[158:159], v[154:155] neg_lo:[0,1] neg_hi:[0,1]
	v_add_u32_e32 v7, v103, v7
	v_pk_fma_f32 v[22:23], v[158:159], 2.0, v[20:21] op_sel_hi:[1,0,1] neg_lo:[0,0,1] neg_hi:[0,0,1]
	s_waitcnt lgkmcnt(0)
	v_pk_add_f32 v[30:31], v[16:17], v[148:149] neg_lo:[0,1] neg_hi:[0,1]
	v_add_lshl_u32 v103, v43, v7, 3
	v_pk_add_f32 v[148:149], v[30:31], v[20:21] op_sel:[0,1] op_sel_hi:[1,0] neg_lo:[0,1] neg_hi:[0,1]
	v_pk_add_f32 v[20:21], v[30:31], v[20:21] op_sel:[0,1] op_sel_hi:[1,0]
	v_pk_fma_f32 v[16:17], v[16:17], 2.0, v[30:31] op_sel_hi:[1,0,1] neg_lo:[0,0,1] neg_hi:[0,0,1]
	v_mov_b32_e32 v149, v21
	v_pk_add_f32 v[154:155], v[16:17], v[22:23] neg_lo:[0,1] neg_hi:[0,1]
	ds_read2_b64 v[20:23], v115 offset0:32 offset1:48
	v_pk_fma_f32 v[16:17], v[16:17], 2.0, v[154:155] op_sel_hi:[1,0,1] neg_lo:[0,0,1] neg_hi:[0,0,1]
	v_pk_fma_f32 v[30:31], v[30:31], 2.0, v[148:149] op_sel_hi:[1,0,1] neg_lo:[0,0,1] neg_hi:[0,0,1]
	v_mov_b32_e32 v129, v131
	v_mov_b32_e32 v145, v147
	;; [unrolled: 1-line block ×3, first 2 shown]
	s_waitcnt lgkmcnt(0)
	; wave barrier
	s_waitcnt lgkmcnt(0)
	ds_write2_b64 v103, v[16:17], v[30:31] offset1:10
	ds_write2_b64 v103, v[154:155], v[148:149] offset0:20 offset1:30
	v_pk_add_f32 v[16:17], v[18:19], v[144:145] neg_lo:[0,1] neg_hi:[0,1]
	v_pk_add_f32 v[30:31], v[128:129], v[140:141] neg_lo:[0,1] neg_hi:[0,1]
	v_pk_fma_f32 v[18:19], v[18:19], 2.0, v[16:17] op_sel_hi:[1,0,1] neg_lo:[0,0,1] neg_hi:[0,0,1]
	v_pk_fma_f32 v[128:129], v[128:129], 2.0, v[30:31] op_sel_hi:[1,0,1] neg_lo:[0,0,1] neg_hi:[0,0,1]
	v_pk_add_f32 v[130:131], v[16:17], v[30:31] op_sel:[0,1] op_sel_hi:[1,0] neg_lo:[0,1] neg_hi:[0,1]
	v_pk_add_f32 v[30:31], v[16:17], v[30:31] op_sel:[0,1] op_sel_hi:[1,0]
	v_mad_legacy_u16 v7, v164, 40, v165
	v_mov_b32_e32 v131, v31
	v_and_b32_e32 v7, 0xff, v7
	v_pk_add_f32 v[30:31], v[18:19], v[128:129] neg_lo:[0,1] neg_hi:[0,1]
	v_add_lshl_u32 v155, v43, v7, 3
	v_pk_fma_f32 v[18:19], v[18:19], 2.0, v[30:31] op_sel_hi:[1,0,1] neg_lo:[0,0,1] neg_hi:[0,0,1]
	v_pk_fma_f32 v[16:17], v[16:17], 2.0, v[130:131] op_sel_hi:[1,0,1] neg_lo:[0,0,1] neg_hi:[0,0,1]
	v_mov_b32_e32 v123, v127
	v_mov_b32_e32 v57, v59
	;; [unrolled: 1-line block ×3, first 2 shown]
	ds_write2_b64 v155, v[18:19], v[16:17] offset1:10
	ds_write2_b64 v155, v[30:31], v[130:131] offset0:20 offset1:30
	v_pk_add_f32 v[16:17], v[20:21], v[56:57] neg_lo:[0,1] neg_hi:[0,1]
	v_pk_add_f32 v[18:19], v[122:123], v[136:137] neg_lo:[0,1] neg_hi:[0,1]
	v_mov_b32_e32 v7, 40
	v_pk_fma_f32 v[30:31], v[122:123], 2.0, v[18:19] op_sel_hi:[1,0,1] neg_lo:[0,0,1] neg_hi:[0,0,1]
	v_pk_add_f32 v[56:57], v[16:17], v[18:19] op_sel:[0,1] op_sel_hi:[1,0] neg_lo:[0,1] neg_hi:[0,1]
	v_pk_add_f32 v[18:19], v[16:17], v[18:19] op_sel:[0,1] op_sel_hi:[1,0]
	v_mov_b32_e32 v151, v153
	v_mul_u32_u24_sdwa v18, v161, v7 dst_sel:DWORD dst_unused:UNUSED_PAD src0_sel:BYTE_1 src1_sel:DWORD
	v_add_u32_e32 v18, v18, v163
	v_mov_b32_e32 v57, v19
	v_add_lshl_u32 v161, v43, v18, 3
	v_pk_fma_f32 v[18:19], v[20:21], 2.0, v[16:17] op_sel_hi:[1,0,1] neg_lo:[0,0,1] neg_hi:[0,0,1]
	v_pk_fma_f32 v[16:17], v[16:17], 2.0, v[56:57] op_sel_hi:[1,0,1] neg_lo:[0,0,1] neg_hi:[0,0,1]
	v_pk_add_f32 v[20:21], v[18:19], v[30:31] neg_lo:[0,1] neg_hi:[0,1]
	v_mov_b32_e32 v49, v51
	v_pk_fma_f32 v[18:19], v[18:19], 2.0, v[20:21] op_sel_hi:[1,0,1] neg_lo:[0,0,1] neg_hi:[0,0,1]
	ds_write2_b64 v161, v[18:19], v[16:17] offset1:10
	v_pk_add_f32 v[16:17], v[28:29], v[150:151] neg_lo:[0,1] neg_hi:[0,1]
	v_mov_b32_e32 v53, v55
	v_pk_fma_f32 v[18:19], v[28:29], 2.0, v[16:17] op_sel_hi:[1,0,1] neg_lo:[0,0,1] neg_hi:[0,0,1]
	v_pk_add_f32 v[28:29], v[32:33], v[36:37] neg_lo:[0,1] neg_hi:[0,1]
	v_pk_add_f32 v[34:35], v[44:45], v[52:53] neg_lo:[0,1] neg_hi:[0,1]
	v_pk_fma_f32 v[30:31], v[32:33], 2.0, v[28:29] op_sel_hi:[1,0,1] neg_lo:[0,0,1] neg_hi:[0,0,1]
	v_pk_add_f32 v[32:33], v[22:23], v[48:49] neg_lo:[0,1] neg_hi:[0,1]
	v_mul_u32_u24_sdwa v7, v132, v7 dst_sel:DWORD dst_unused:UNUSED_PAD src0_sel:BYTE_1 src1_sel:DWORD
	v_pk_fma_f32 v[22:23], v[22:23], 2.0, v[32:33] op_sel_hi:[1,0,1] neg_lo:[0,0,1] neg_hi:[0,0,1]
	v_pk_fma_f32 v[36:37], v[44:45], 2.0, v[34:35] op_sel_hi:[1,0,1] neg_lo:[0,0,1] neg_hi:[0,0,1]
	ds_write2_b64 v161, v[20:21], v[56:57] offset0:20 offset1:30
	v_pk_add_f32 v[20:21], v[32:33], v[34:35] op_sel:[0,1] op_sel_hi:[1,0] neg_lo:[0,1] neg_hi:[0,1]
	v_pk_add_f32 v[34:35], v[32:33], v[34:35] op_sel:[0,1] op_sel_hi:[1,0]
	v_add_u32_e32 v7, v7, v162
	v_pk_add_f32 v[36:37], v[22:23], v[36:37] neg_lo:[0,1] neg_hi:[0,1]
	v_mov_b32_e32 v21, v35
	v_add_lshl_u32 v163, v43, v7, 3
	v_pk_fma_f32 v[22:23], v[22:23], 2.0, v[36:37] op_sel_hi:[1,0,1] neg_lo:[0,0,1] neg_hi:[0,0,1]
	v_pk_fma_f32 v[32:33], v[32:33], 2.0, v[20:21] op_sel_hi:[1,0,1] neg_lo:[0,0,1] neg_hi:[0,0,1]
	v_mul_u32_u24_e32 v7, 40, v134
	ds_write2_b64 v163, v[22:23], v[32:33] offset1:10
	ds_write2_b64 v163, v[36:37], v[20:21] offset0:20 offset1:30
	v_pk_add_f32 v[20:21], v[16:17], v[28:29] op_sel:[0,1] op_sel_hi:[1,0] neg_lo:[0,1] neg_hi:[0,1]
	v_pk_add_f32 v[22:23], v[16:17], v[28:29] op_sel:[0,1] op_sel_hi:[1,0]
	v_add_u32_e32 v7, v7, v160
	v_pk_add_f32 v[30:31], v[18:19], v[30:31] neg_lo:[0,1] neg_hi:[0,1]
	v_mov_b32_e32 v21, v23
	v_add_lshl_u32 v7, v43, v7, 3
	v_pk_fma_f32 v[18:19], v[18:19], 2.0, v[30:31] op_sel_hi:[1,0,1] neg_lo:[0,0,1] neg_hi:[0,0,1]
	v_pk_fma_f32 v[16:17], v[16:17], 2.0, v[20:21] op_sel_hi:[1,0,1] neg_lo:[0,0,1] neg_hi:[0,0,1]
	v_mad_u64_u32 v[44:45], s[18:19], v121, 24, s[10:11]
	ds_write2_b64 v7, v[18:19], v[16:17] offset1:10
	ds_write2_b64 v7, v[30:31], v[20:21] offset0:20 offset1:30
	s_waitcnt lgkmcnt(0)
	; wave barrier
	s_waitcnt lgkmcnt(0)
	global_load_dwordx4 v[16:19], v[44:45], off offset:240
	global_load_dwordx4 v[20:23], v[44:45], off offset:624
	;; [unrolled: 1-line block ×4, first 2 shown]
	global_load_dwordx2 v[126:127], v[44:45], off offset:256
	global_load_dwordx2 v[130:131], v[44:45], off offset:448
	;; [unrolled: 1-line block ×3, first 2 shown]
	v_add_u32_e32 v36, -8, v121
	v_cmp_gt_u64_e32 vcc, 40, v[40:41]
	s_waitcnt vmcnt(6)
	v_mov_b32_e32 v132, v19
	v_cndmask_b32_e32 v194, v36, v40, vcc
	v_mul_hi_i32_i24_e32 v37, 24, v194
	v_mul_i32_i24_e32 v36, 24, v194
	v_lshl_add_u64 v[46:47], s[10:11], 0, v[36:37]
	global_load_dwordx4 v[36:39], v[46:47], off offset:240
	global_load_dwordx2 v[128:129], v[44:45], off offset:640
	global_load_dwordx2 v[122:123], v[46:47], off offset:256
	ds_read2_b64 v[44:47], v115 offset0:160 offset1:176
	s_waitcnt vmcnt(8)
	v_mov_b32_e32 v134, v23
	s_waitcnt vmcnt(6)
	v_mov_b32_e32 v160, v35
	v_mov_b32_e32 v162, v31
	v_cmp_lt_u64_e32 vcc, 39, v[40:41]
	s_waitcnt lgkmcnt(0)
	v_pk_mul_f32 v[48:49], v[44:45], v[132:133] op_sel_hi:[1,0]
	s_waitcnt vmcnt(2)
	v_mov_b32_e32 v154, v39
	v_pk_fma_f32 v[54:55], v[44:45], v[18:19], v[48:49] op_sel:[0,0,1] op_sel_hi:[1,1,0] neg_lo:[0,0,1] neg_hi:[0,0,1]
	v_pk_fma_f32 v[56:57], v[44:45], v[18:19], v[48:49] op_sel:[0,0,1] op_sel_hi:[1,0,0]
	ds_read2_b64 v[48:51], v115 offset0:128 offset1:144
	v_pk_mul_f32 v[44:45], v[46:47], v[134:135] op_sel_hi:[1,0]
	v_mov_b32_e32 v55, v57
	v_pk_fma_f32 v[58:59], v[46:47], v[22:23], v[44:45] op_sel:[0,0,1] op_sel_hi:[1,1,0] neg_lo:[0,0,1] neg_hi:[0,0,1]
	v_pk_fma_f32 v[138:139], v[46:47], v[22:23], v[44:45] op_sel:[0,0,1] op_sel_hi:[1,0,0]
	ds_read2_b64 v[44:47], v115 offset0:224 offset1:240
	s_waitcnt lgkmcnt(1)
	v_pk_mul_f32 v[52:53], v[48:49], v[28:29] op_sel:[0,1]
	v_mov_b32_e32 v59, v139
	v_pk_fma_f32 v[140:141], v[48:49], v[28:29], v[52:53] op_sel:[0,0,1] op_sel_hi:[1,1,0] neg_lo:[0,0,1] neg_hi:[0,0,1]
	v_pk_fma_f32 v[142:143], v[48:49], v[28:29], v[52:53] op_sel:[0,0,1] op_sel_hi:[1,0,0]
	v_pk_mul_f32 v[48:49], v[50:51], v[32:33] op_sel:[0,1]
	v_mov_b32_e32 v19, 0xa0
	v_pk_fma_f32 v[144:145], v[50:51], v[32:33], v[48:49] op_sel:[0,0,1] op_sel_hi:[1,1,0] neg_lo:[0,0,1] neg_hi:[0,0,1]
	v_pk_fma_f32 v[146:147], v[50:51], v[32:33], v[48:49] op_sel:[0,0,1] op_sel_hi:[1,0,0]
	s_waitcnt lgkmcnt(0)
	v_pk_mul_f32 v[48:49], v[46:47], v[126:127] op_sel:[0,1]
	v_pk_mul_f32 v[50:51], v[44:45], v[160:161] op_sel_hi:[1,0]
	v_pk_fma_f32 v[148:149], v[46:47], v[126:127], v[48:49] op_sel:[0,0,1] op_sel_hi:[1,1,0] neg_lo:[0,0,1] neg_hi:[0,0,1]
	v_pk_fma_f32 v[150:151], v[46:47], v[126:127], v[48:49] op_sel:[0,0,1] op_sel_hi:[1,0,0]
	ds_read2_b64 v[46:49], v101 offset0:32 offset1:48
	v_pk_fma_f32 v[152:153], v[44:45], v[34:35], v[50:51] op_sel:[0,0,1] op_sel_hi:[1,1,0] neg_lo:[0,0,1] neg_hi:[0,0,1]
	v_pk_fma_f32 v[156:157], v[44:45], v[34:35], v[50:51] op_sel:[0,0,1] op_sel_hi:[1,0,0]
	ds_read2_b64 v[50:53], v115 offset0:96 offset1:112
	v_mov_b32_e32 v149, v151
	s_waitcnt lgkmcnt(1)
	v_pk_mul_f32 v[44:45], v[46:47], v[130:131] op_sel:[0,1]
	v_cndmask_b32_e32 v19, 0, v19, vcc
	v_pk_fma_f32 v[158:159], v[46:47], v[130:131], v[44:45] op_sel:[0,0,1] op_sel_hi:[1,1,0] neg_lo:[0,0,1] neg_hi:[0,0,1]
	v_pk_fma_f32 v[164:165], v[46:47], v[130:131], v[44:45] op_sel:[0,0,1] op_sel_hi:[1,0,0]
	v_pk_mul_f32 v[44:45], v[48:49], v[136:137] op_sel:[0,1]
	v_add_u32_e32 v19, v19, v194
	v_pk_fma_f32 v[166:167], v[48:49], v[136:137], v[44:45] op_sel:[0,0,1] op_sel_hi:[1,1,0] neg_lo:[0,0,1] neg_hi:[0,0,1]
	v_pk_fma_f32 v[168:169], v[48:49], v[136:137], v[44:45] op_sel:[0,0,1] op_sel_hi:[1,0,0]
	s_waitcnt lgkmcnt(0)
	v_pk_mul_f32 v[44:45], v[50:51], v[20:21] op_sel:[0,1]
	v_pk_mul_f32 v[48:49], v[52:53], v[36:37] op_sel:[0,1]
	v_pk_fma_f32 v[170:171], v[50:51], v[20:21], v[44:45] op_sel:[0,0,1] op_sel_hi:[1,1,0] neg_lo:[0,0,1] neg_hi:[0,0,1]
	v_pk_fma_f32 v[172:173], v[50:51], v[20:21], v[44:45] op_sel:[0,0,1] op_sel_hi:[1,0,0]
	ds_read2_b64 v[44:47], v115 offset0:192 offset1:208
	v_pk_fma_f32 v[174:175], v[52:53], v[36:37], v[48:49] op_sel:[0,0,1] op_sel_hi:[1,1,0] neg_lo:[0,0,1] neg_hi:[0,0,1]
	v_pk_fma_f32 v[176:177], v[52:53], v[36:37], v[48:49] op_sel:[0,0,1] op_sel_hi:[1,0,0]
	v_mov_b32_e32 v171, v173
	v_mov_b32_e32 v175, v177
	s_waitcnt lgkmcnt(0)
	v_pk_mul_f32 v[48:49], v[46:47], v[162:163] op_sel_hi:[1,0]
	v_pk_mul_f32 v[50:51], v[44:45], v[154:155] op_sel_hi:[1,0]
	v_pk_fma_f32 v[178:179], v[46:47], v[30:31], v[48:49] op_sel:[0,0,1] op_sel_hi:[1,1,0] neg_lo:[0,0,1] neg_hi:[0,0,1]
	v_pk_fma_f32 v[180:181], v[46:47], v[30:31], v[48:49] op_sel:[0,0,1] op_sel_hi:[1,0,0]
	ds_read2_b64 v[46:49], v101 offset1:16
	v_pk_fma_f32 v[182:183], v[44:45], v[38:39], v[50:51] op_sel:[0,0,1] op_sel_hi:[1,1,0] neg_lo:[0,0,1] neg_hi:[0,0,1]
	v_pk_fma_f32 v[184:185], v[44:45], v[38:39], v[50:51] op_sel:[0,0,1] op_sel_hi:[1,0,0]
	ds_read2_b64 v[50:53], v115 offset0:64 offset1:80
	v_mov_b32_e32 v183, v185
	s_waitcnt vmcnt(1) lgkmcnt(1)
	v_pk_mul_f32 v[44:45], v[46:47], v[128:129] op_sel:[0,1]
	v_add_lshl_u32 v23, v43, v19, 3
	v_pk_fma_f32 v[186:187], v[46:47], v[128:129], v[44:45] op_sel:[0,0,1] op_sel_hi:[1,1,0] neg_lo:[0,0,1] neg_hi:[0,0,1]
	v_pk_fma_f32 v[188:189], v[46:47], v[128:129], v[44:45] op_sel:[0,0,1] op_sel_hi:[1,0,0]
	s_waitcnt vmcnt(0)
	v_pk_mul_f32 v[44:45], v[48:49], v[122:123] op_sel:[0,1]
	v_mov_b32_e32 v187, v189
	v_pk_fma_f32 v[190:191], v[48:49], v[122:123], v[44:45] op_sel:[0,0,1] op_sel_hi:[1,1,0] neg_lo:[0,0,1] neg_hi:[0,0,1]
	v_pk_fma_f32 v[48:49], v[48:49], v[122:123], v[44:45] op_sel:[0,0,1] op_sel_hi:[1,0,0]
	s_waitcnt lgkmcnt(0)
	v_pk_mul_f32 v[44:45], v[52:53], v[16:17] op_sel:[0,1]
	v_mov_b32_e32 v191, v49
	v_pk_fma_f32 v[192:193], v[52:53], v[16:17], v[44:45] op_sel:[0,0,1] op_sel_hi:[1,1,0] neg_lo:[0,0,1] neg_hi:[0,0,1]
	v_pk_fma_f32 v[44:45], v[52:53], v[16:17], v[44:45] op_sel:[0,0,1] op_sel_hi:[1,0,0]
	v_mov_b32_e32 v179, v181
	v_mov_b32_e32 v193, v45
	ds_read2_b64 v[44:47], v115 offset1:16
	v_mov_b32_e32 v153, v157
	v_mov_b32_e32 v141, v143
	;; [unrolled: 1-line block ×4, first 2 shown]
	s_waitcnt lgkmcnt(0)
	v_pk_add_f32 v[52:53], v[44:45], v[54:55] neg_lo:[0,1] neg_hi:[0,1]
	v_pk_add_f32 v[54:55], v[46:47], v[58:59] neg_lo:[0,1] neg_hi:[0,1]
	v_pk_fma_f32 v[56:57], v[44:45], 2.0, v[52:53] op_sel_hi:[1,0,1] neg_lo:[0,0,1] neg_hi:[0,0,1]
	v_pk_add_f32 v[44:45], v[192:193], v[148:149] neg_lo:[0,1] neg_hi:[0,1]
	v_pk_fma_f32 v[58:59], v[46:47], 2.0, v[54:55] op_sel_hi:[1,0,1] neg_lo:[0,0,1] neg_hi:[0,0,1]
	v_pk_fma_f32 v[138:139], v[192:193], 2.0, v[44:45] op_sel_hi:[1,0,1] neg_lo:[0,0,1] neg_hi:[0,0,1]
	v_pk_add_f32 v[148:149], v[52:53], v[44:45] op_sel:[0,1] op_sel_hi:[1,0] neg_lo:[0,1] neg_hi:[0,1]
	v_pk_add_f32 v[44:45], v[52:53], v[44:45] op_sel:[0,1] op_sel_hi:[1,0]
	v_mov_b32_e32 v167, v169
	v_mov_b32_e32 v149, v45
	v_pk_fma_f32 v[52:53], v[52:53], 2.0, v[148:149] op_sel_hi:[1,0,1] neg_lo:[0,0,1] neg_hi:[0,0,1]
	ds_read2_b64 v[44:47], v115 offset0:32 offset1:48
	s_waitcnt lgkmcnt(0)
	; wave barrier
	s_waitcnt lgkmcnt(0)
	ds_write_b64 v115, v[52:53] offset:320
	v_pk_add_f32 v[52:53], v[56:57], v[138:139] neg_lo:[0,1] neg_hi:[0,1]
	ds_write_b64 v115, v[52:53] offset:640
	ds_write_b64 v115, v[148:149] offset:960
	v_pk_fma_f32 v[56:57], v[56:57], 2.0, v[52:53] op_sel_hi:[1,0,1] neg_lo:[0,0,1] neg_hi:[0,0,1]
	v_pk_add_f32 v[52:53], v[170:171], v[186:187] neg_lo:[0,1] neg_hi:[0,1]
	v_add_u32_e32 v31, 0x400, v115
	v_pk_fma_f32 v[138:139], v[170:171], 2.0, v[52:53] op_sel_hi:[1,0,1] neg_lo:[0,0,1] neg_hi:[0,0,1]
	v_add_u32_e32 v19, 0x400, v113
	v_pk_add_f32 v[138:139], v[58:59], v[138:139] neg_lo:[0,1] neg_hi:[0,1]
	s_nop 0
	v_pk_fma_f32 v[58:59], v[58:59], 2.0, v[138:139] op_sel_hi:[1,0,1] neg_lo:[0,0,1] neg_hi:[0,0,1]
	ds_write2_b64 v115, v[56:57], v[58:59] offset1:16
	v_pk_add_f32 v[56:57], v[54:55], v[52:53] op_sel:[0,1] op_sel_hi:[1,0] neg_lo:[0,1] neg_hi:[0,1]
	v_pk_add_f32 v[52:53], v[54:55], v[52:53] op_sel:[0,1] op_sel_hi:[1,0]
	s_nop 0
	v_mov_b32_e32 v57, v53
	v_pk_fma_f32 v[48:49], v[54:55], 2.0, v[56:57] op_sel_hi:[1,0,1] neg_lo:[0,0,1] neg_hi:[0,0,1]
	ds_write_b64 v115, v[48:49] offset:448
	ds_write_b64 v115, v[138:139] offset:768
	ds_write_b64 v115, v[56:57] offset:1088
	v_pk_add_f32 v[48:49], v[44:45], v[182:183] neg_lo:[0,1] neg_hi:[0,1]
	v_pk_add_f32 v[52:53], v[174:175], v[190:191] neg_lo:[0,1] neg_hi:[0,1]
	v_pk_fma_f32 v[40:41], v[44:45], 2.0, v[48:49] op_sel_hi:[1,0,1] neg_lo:[0,0,1] neg_hi:[0,0,1]
	v_pk_fma_f32 v[54:55], v[174:175], 2.0, v[52:53] op_sel_hi:[1,0,1] neg_lo:[0,0,1] neg_hi:[0,0,1]
	v_pk_add_f32 v[56:57], v[48:49], v[52:53] op_sel:[0,1] op_sel_hi:[1,0] neg_lo:[0,1] neg_hi:[0,1]
	v_pk_add_f32 v[52:53], v[48:49], v[52:53] op_sel:[0,1] op_sel_hi:[1,0]
	v_pk_add_f32 v[44:45], v[40:41], v[54:55] neg_lo:[0,1] neg_hi:[0,1]
	v_mov_b32_e32 v57, v53
	v_pk_fma_f32 v[40:41], v[40:41], 2.0, v[44:45] op_sel_hi:[1,0,1] neg_lo:[0,0,1] neg_hi:[0,0,1]
	v_pk_fma_f32 v[48:49], v[48:49], 2.0, v[56:57] op_sel_hi:[1,0,1] neg_lo:[0,0,1] neg_hi:[0,0,1]
	ds_write2_b64 v23, v[40:41], v[48:49] offset1:40
	ds_write2_b64 v23, v[44:45], v[56:57] offset0:80 offset1:120
	v_pk_add_f32 v[40:41], v[46:47], v[178:179] neg_lo:[0,1] neg_hi:[0,1]
	v_pk_add_f32 v[54:55], v[144:145], v[166:167] neg_lo:[0,1] neg_hi:[0,1]
	v_pk_fma_f32 v[44:45], v[46:47], 2.0, v[40:41] op_sel_hi:[1,0,1] neg_lo:[0,0,1] neg_hi:[0,0,1]
	v_pk_add_f32 v[46:47], v[50:51], v[152:153] neg_lo:[0,1] neg_hi:[0,1]
	v_pk_fma_f32 v[56:57], v[144:145], 2.0, v[54:55] op_sel_hi:[1,0,1] neg_lo:[0,0,1] neg_hi:[0,0,1]
	v_pk_fma_f32 v[48:49], v[50:51], 2.0, v[46:47] op_sel_hi:[1,0,1] neg_lo:[0,0,1] neg_hi:[0,0,1]
	v_pk_add_f32 v[50:51], v[140:141], v[158:159] neg_lo:[0,1] neg_hi:[0,1]
	v_pk_add_f32 v[56:57], v[48:49], v[56:57] neg_lo:[0,1] neg_hi:[0,1]
	v_pk_fma_f32 v[52:53], v[140:141], 2.0, v[50:51] op_sel_hi:[1,0,1] neg_lo:[0,0,1] neg_hi:[0,0,1]
	v_pk_fma_f32 v[48:49], v[48:49], 2.0, v[56:57] op_sel_hi:[1,0,1] neg_lo:[0,0,1] neg_hi:[0,0,1]
	v_pk_add_f32 v[52:53], v[44:45], v[52:53] neg_lo:[0,1] neg_hi:[0,1]
	s_nop 0
	v_pk_fma_f32 v[44:45], v[44:45], 2.0, v[52:53] op_sel_hi:[1,0,1] neg_lo:[0,0,1] neg_hi:[0,0,1]
	ds_write2_b64 v115, v[44:45], v[48:49] offset0:168 offset1:184
	v_pk_add_f32 v[44:45], v[40:41], v[50:51] op_sel:[0,1] op_sel_hi:[1,0] neg_lo:[0,1] neg_hi:[0,1]
	v_pk_add_f32 v[48:49], v[40:41], v[50:51] op_sel:[0,1] op_sel_hi:[1,0]
	v_pk_add_f32 v[50:51], v[46:47], v[54:55] op_sel:[0,1] op_sel_hi:[1,0]
	v_mov_b32_e32 v45, v49
	v_pk_add_f32 v[48:49], v[46:47], v[54:55] op_sel:[0,1] op_sel_hi:[1,0] neg_lo:[0,1] neg_hi:[0,1]
	v_pk_fma_f32 v[40:41], v[40:41], 2.0, v[44:45] op_sel_hi:[1,0,1] neg_lo:[0,0,1] neg_hi:[0,0,1]
	v_mov_b32_e32 v49, v51
	v_pk_fma_f32 v[46:47], v[46:47], 2.0, v[48:49] op_sel_hi:[1,0,1] neg_lo:[0,0,1] neg_hi:[0,0,1]
	ds_write2_b64 v115, v[40:41], v[46:47] offset0:208 offset1:224
	ds_write2_b64 v31, v[52:53], v[56:57] offset0:120 offset1:136
	;; [unrolled: 1-line block ×3, first 2 shown]
	s_waitcnt lgkmcnt(0)
	; wave barrier
	s_waitcnt lgkmcnt(0)
	global_load_dwordx2 v[144:145], v42, s[10:11] offset:1200
	global_load_dwordx2 v[138:139], v42, s[10:11] offset:1328
	;; [unrolled: 1-line block ×10, first 2 shown]
	ds_read2_b64 v[44:47], v115 offset0:160 offset1:176
	ds_read2_b64 v[48:51], v115 offset0:192 offset1:208
	s_mov_b32 s10, 0xbf4f1bbd
	s_mov_b32 s11, s2
	s_waitcnt vmcnt(9) lgkmcnt(1)
	v_pk_mul_f32 v[40:41], v[44:45], v[144:145] op_sel:[0,1]
	s_nop 0
	v_pk_fma_f32 v[52:53], v[44:45], v[144:145], v[40:41] op_sel:[0,0,1] op_sel_hi:[1,1,0] neg_lo:[0,0,1] neg_hi:[0,0,1]
	v_pk_fma_f32 v[40:41], v[44:45], v[144:145], v[40:41] op_sel:[0,0,1] op_sel_hi:[1,0,0]
	s_waitcnt vmcnt(8)
	v_pk_mul_f32 v[44:45], v[46:47], v[138:139] op_sel:[0,1]
	s_waitcnt vmcnt(7) lgkmcnt(0)
	v_pk_mul_f32 v[58:59], v[48:49], v[150:151] op_sel:[0,1]
	v_pk_fma_f32 v[54:55], v[46:47], v[138:139], v[44:45] op_sel:[0,0,1] op_sel_hi:[1,1,0] neg_lo:[0,0,1] neg_hi:[0,0,1]
	v_pk_fma_f32 v[56:57], v[46:47], v[138:139], v[44:45] op_sel:[0,0,1] op_sel_hi:[1,0,0]
	ds_read2_b64 v[44:47], v115 offset0:224 offset1:240
	v_pk_fma_f32 v[164:165], v[48:49], v[150:151], v[58:59] op_sel:[0,0,1] op_sel_hi:[1,1,0] neg_lo:[0,0,1] neg_hi:[0,0,1]
	v_pk_fma_f32 v[58:59], v[48:49], v[150:151], v[58:59] op_sel:[0,0,1] op_sel_hi:[1,0,0]
	s_waitcnt vmcnt(6)
	v_pk_mul_f32 v[48:49], v[50:51], v[156:157] op_sel:[0,1]
	v_mov_b32_e32 v53, v41
	v_pk_fma_f32 v[166:167], v[50:51], v[156:157], v[48:49] op_sel:[0,0,1] op_sel_hi:[1,1,0] neg_lo:[0,0,1] neg_hi:[0,0,1]
	v_pk_fma_f32 v[168:169], v[50:51], v[156:157], v[48:49] op_sel:[0,0,1] op_sel_hi:[1,0,0]
	s_waitcnt vmcnt(5) lgkmcnt(0)
	v_pk_mul_f32 v[170:171], v[44:45], v[142:143] op_sel:[0,1]
	ds_read2_b64 v[48:51], v101 offset1:16
	v_pk_fma_f32 v[172:173], v[44:45], v[142:143], v[170:171] op_sel:[0,0,1] op_sel_hi:[1,1,0] neg_lo:[0,0,1] neg_hi:[0,0,1]
	v_pk_fma_f32 v[170:171], v[44:45], v[142:143], v[170:171] op_sel:[0,0,1] op_sel_hi:[1,0,0]
	s_waitcnt vmcnt(4)
	v_pk_mul_f32 v[44:45], v[46:47], v[158:159] op_sel:[0,1]
	v_mov_b32_e32 v55, v57
	v_pk_fma_f32 v[174:175], v[46:47], v[158:159], v[44:45] op_sel:[0,0,1] op_sel_hi:[1,1,0] neg_lo:[0,0,1] neg_hi:[0,0,1]
	v_pk_fma_f32 v[176:177], v[46:47], v[158:159], v[44:45] op_sel:[0,0,1] op_sel_hi:[1,0,0]
	ds_read2_b64 v[44:47], v101 offset0:32 offset1:48
	s_waitcnt vmcnt(3) lgkmcnt(1)
	v_pk_mul_f32 v[178:179], v[48:49], v[146:147] op_sel:[0,1]
	v_mov_b32_e32 v165, v59
	v_pk_fma_f32 v[180:181], v[48:49], v[146:147], v[178:179] op_sel:[0,0,1] op_sel_hi:[1,1,0] neg_lo:[0,0,1] neg_hi:[0,0,1]
	v_pk_fma_f32 v[178:179], v[48:49], v[146:147], v[178:179] op_sel:[0,0,1] op_sel_hi:[1,0,0]
	s_waitcnt vmcnt(2)
	v_pk_mul_f32 v[48:49], v[50:51], v[152:153] op_sel:[0,1]
	v_mov_b32_e32 v167, v169
	v_pk_fma_f32 v[182:183], v[50:51], v[152:153], v[48:49] op_sel:[0,0,1] op_sel_hi:[1,1,0] neg_lo:[0,0,1] neg_hi:[0,0,1]
	v_pk_fma_f32 v[184:185], v[50:51], v[152:153], v[48:49] op_sel:[0,0,1] op_sel_hi:[1,0,0]
	s_waitcnt vmcnt(1) lgkmcnt(0)
	v_pk_mul_f32 v[48:49], v[44:45], v[140:141] op_sel:[0,1]
	v_mov_b32_e32 v173, v171
	v_pk_fma_f32 v[186:187], v[44:45], v[140:141], v[48:49] op_sel:[0,0,1] op_sel_hi:[1,1,0] neg_lo:[0,0,1] neg_hi:[0,0,1]
	v_pk_fma_f32 v[188:189], v[44:45], v[140:141], v[48:49] op_sel:[0,0,1] op_sel_hi:[1,0,0]
	s_waitcnt vmcnt(0)
	v_pk_mul_f32 v[44:45], v[46:47], v[148:149] op_sel:[0,1]
	ds_read2_b64 v[48:51], v115 offset1:16
	v_pk_fma_f32 v[190:191], v[46:47], v[148:149], v[44:45] op_sel:[0,0,1] op_sel_hi:[1,1,0] neg_lo:[0,0,1] neg_hi:[0,0,1]
	v_pk_fma_f32 v[192:193], v[46:47], v[148:149], v[44:45] op_sel:[0,0,1] op_sel_hi:[1,0,0]
	ds_read2_b64 v[44:47], v115 offset0:32 offset1:48
	v_mov_b32_e32 v175, v177
	s_waitcnt lgkmcnt(1)
	v_pk_add_f32 v[40:41], v[48:49], v[52:53] neg_lo:[0,1] neg_hi:[0,1]
	v_pk_add_f32 v[56:57], v[50:51], v[54:55] neg_lo:[0,1] neg_hi:[0,1]
	v_pk_fma_f32 v[194:195], v[48:49], 2.0, v[40:41] op_sel_hi:[1,0,1] neg_lo:[0,0,1] neg_hi:[0,0,1]
	s_waitcnt lgkmcnt(0)
	v_pk_add_f32 v[58:59], v[44:45], v[164:165] neg_lo:[0,1] neg_hi:[0,1]
	v_pk_add_f32 v[164:165], v[46:47], v[166:167] neg_lo:[0,1] neg_hi:[0,1]
	v_pk_fma_f32 v[196:197], v[50:51], 2.0, v[56:57] op_sel_hi:[1,0,1] neg_lo:[0,0,1] neg_hi:[0,0,1]
	v_pk_fma_f32 v[166:167], v[44:45], 2.0, v[58:59] op_sel_hi:[1,0,1] neg_lo:[0,0,1] neg_hi:[0,0,1]
	;; [unrolled: 1-line block ×3, first 2 shown]
	ds_read2_b64 v[44:47], v115 offset0:64 offset1:80
	ds_read2_b64 v[48:51], v115 offset0:96 offset1:112
	;; [unrolled: 1-line block ×3, first 2 shown]
	ds_write_b64 v115, v[194:195]
	ds_write_b64 v113, v[40:41] offset:1280
	ds_write_b64 v115, v[196:197] offset:128
	;; [unrolled: 1-line block ×6, first 2 shown]
	v_mov_b32_e32 v181, v179
	s_waitcnt lgkmcnt(9)
	v_pk_add_f32 v[40:41], v[44:45], v[172:173] neg_lo:[0,1] neg_hi:[0,1]
	ds_write2_b64 v113, v[164:165], v[40:41] offset0:208 offset1:224
	v_pk_fma_f32 v[40:41], v[44:45], 2.0, v[40:41] op_sel_hi:[1,0,1] neg_lo:[0,0,1] neg_hi:[0,0,1]
	v_pk_add_f32 v[44:45], v[46:47], v[174:175] neg_lo:[0,1] neg_hi:[0,1]
	v_mov_b32_e32 v183, v185
	v_pk_fma_f32 v[46:47], v[46:47], 2.0, v[44:45] op_sel_hi:[1,0,1] neg_lo:[0,0,1] neg_hi:[0,0,1]
	ds_write2_b64 v113, v[40:41], v[46:47] offset0:64 offset1:80
	s_waitcnt lgkmcnt(10)
	v_pk_add_f32 v[40:41], v[48:49], v[180:181] neg_lo:[0,1] neg_hi:[0,1]
	ds_write2_b64 v19, v[44:45], v[40:41] offset0:112 offset1:128
	v_pk_add_f32 v[44:45], v[50:51], v[182:183] neg_lo:[0,1] neg_hi:[0,1]
	v_pk_fma_f32 v[40:41], v[48:49], 2.0, v[40:41] op_sel_hi:[1,0,1] neg_lo:[0,0,1] neg_hi:[0,0,1]
	v_pk_fma_f32 v[46:47], v[50:51], 2.0, v[44:45] op_sel_hi:[1,0,1] neg_lo:[0,0,1] neg_hi:[0,0,1]
	v_mov_b32_e32 v187, v189
	ds_write2_b64 v113, v[40:41], v[46:47] offset0:96 offset1:112
	v_mov_b32_e32 v191, v193
	s_waitcnt lgkmcnt(11)
	v_pk_add_f32 v[40:41], v[52:53], v[186:187] neg_lo:[0,1] neg_hi:[0,1]
	ds_write2_b64 v125, v[44:45], v[40:41] offset0:16 offset1:32
	v_pk_add_f32 v[44:45], v[54:55], v[190:191] neg_lo:[0,1] neg_hi:[0,1]
	v_pk_fma_f32 v[40:41], v[52:53], 2.0, v[40:41] op_sel_hi:[1,0,1] neg_lo:[0,0,1] neg_hi:[0,0,1]
	v_pk_fma_f32 v[46:47], v[54:55], 2.0, v[44:45] op_sel_hi:[1,0,1] neg_lo:[0,0,1] neg_hi:[0,0,1]
	ds_write2_b64 v113, v[40:41], v[46:47] offset0:128 offset1:144
	ds_write_b64 v113, v[44:45] offset:2432
	s_waitcnt lgkmcnt(0)
	; wave barrier
	s_waitcnt lgkmcnt(0)
	global_load_dwordx2 v[40:41], v42, s[8:9] offset:2560
	global_load_dwordx2 v[48:49], v42, s[16:17] offset:512
	;; [unrolled: 1-line block ×12, first 2 shown]
	ds_read_b64 v[44:45], v115
	ds_read_b64 v[176:177], v115 offset:256
	global_load_dwordx2 v[178:179], v42, s[16:17] offset:2432
	global_load_dwordx2 v[180:181], v42, s[16:17] offset:896
	global_load_dwordx2 v[182:183], v42, s[16:17] offset:640
	s_mov_b32 s8, s6
	s_mov_b32 s9, s12
	s_waitcnt vmcnt(14) lgkmcnt(1)
	v_mul_f32_e32 v35, v45, v41
	v_mul_f32_e32 v47, v44, v41
	v_fma_f32 v46, v44, v40, -v35
	v_fmac_f32_e32 v47, v45, v40
	ds_write_b64 v115, v[46:47]
	ds_read2_b64 v[44:47], v115 offset0:64 offset1:96
	global_load_dwordx2 v[184:185], v42, s[16:17] offset:1408
	global_load_dwordx2 v[186:187], v42, s[16:17] offset:1152
	s_waitcnt vmcnt(15) lgkmcnt(0)
	v_mul_f32_e32 v35, v45, v49
	v_mul_f32_e32 v41, v44, v49
	v_fma_f32 v40, v44, v48, -v35
	v_fmac_f32_e32 v41, v45, v48
	ds_read2_b64 v[48:51], v115 offset0:128 offset1:160
	s_waitcnt vmcnt(14)
	v_mul_f32_e32 v35, v47, v53
	v_mul_f32_e32 v45, v46, v53
	v_fma_f32 v44, v46, v52, -v35
	v_fmac_f32_e32 v45, v47, v52
	s_waitcnt vmcnt(13) lgkmcnt(0)
	v_mul_f32_e32 v35, v49, v55
	v_mul_f32_e32 v47, v48, v55
	v_fma_f32 v46, v48, v54, -v35
	v_fmac_f32_e32 v47, v49, v54
	s_waitcnt vmcnt(12)
	v_mul_f32_e32 v35, v51, v57
	v_mul_f32_e32 v49, v50, v57
	v_fma_f32 v48, v50, v56, -v35
	v_fmac_f32_e32 v49, v51, v56
	s_waitcnt vmcnt(11)
	v_mul_f32_e32 v35, v177, v59
	v_mul_f32_e32 v51, v176, v59
	global_load_dwordx2 v[52:53], v42, s[16:17] offset:1920
	global_load_dwordx2 v[54:55], v42, s[16:17] offset:1664
	v_fma_f32 v50, v176, v58, -v35
	v_fmac_f32_e32 v51, v177, v58
	ds_write2_b64 v115, v[40:41], v[44:45] offset0:64 offset1:96
	ds_write2_b64 v115, v[46:47], v[48:49] offset0:128 offset1:160
	ds_write_b64 v115, v[50:51] offset:256
	global_load_dwordx2 v[44:45], v42, s[16:17] offset:2176
	ds_read_b64 v[40:41], v113 offset:1536
	ds_read_b64 v[42:43], v113 offset:1792
	;; [unrolled: 1-line block ×4, first 2 shown]
	s_mov_b32 s16, 0xbe9e377a
	s_mov_b32 s17, s12
	s_waitcnt vmcnt(13) lgkmcnt(3)
	v_mul_f32_e32 v35, v41, v165
	v_mul_f32_e32 v51, v40, v165
	v_fma_f32 v50, v40, v164, -v35
	v_fmac_f32_e32 v51, v41, v164
	s_waitcnt vmcnt(12) lgkmcnt(2)
	v_mul_f32_e32 v35, v43, v167
	v_mul_f32_e32 v41, v42, v167
	v_fma_f32 v40, v42, v166, -v35
	v_fmac_f32_e32 v41, v43, v166
	s_waitcnt vmcnt(11) lgkmcnt(1)
	v_mul_f32_e32 v35, v47, v169
	v_mul_f32_e32 v43, v46, v169
	v_fma_f32 v42, v46, v168, -v35
	v_fmac_f32_e32 v43, v47, v168
	s_waitcnt vmcnt(10) lgkmcnt(0)
	v_mul_f32_e32 v35, v49, v171
	v_mul_f32_e32 v47, v48, v171
	v_fma_f32 v46, v48, v170, -v35
	v_fmac_f32_e32 v47, v49, v170
	ds_write_b64 v113, v[50:51] offset:1536
	ds_write_b64 v113, v[40:41] offset:1792
	;; [unrolled: 1-line block ×4, first 2 shown]
	ds_read_b64 v[40:41], v115 offset:128
	ds_read_b64 v[42:43], v115 offset:384
	s_waitcnt vmcnt(8) lgkmcnt(1)
	v_mul_f32_e32 v35, v41, v175
	v_mul_f32_e32 v47, v40, v175
	v_fma_f32 v46, v40, v174, -v35
	v_fmac_f32_e32 v47, v41, v174
	s_waitcnt lgkmcnt(0)
	v_mul_f32_e32 v35, v43, v173
	v_mul_f32_e32 v41, v42, v173
	v_fma_f32 v40, v42, v172, -v35
	v_fmac_f32_e32 v41, v43, v172
	ds_write_b64 v115, v[46:47] offset:128
	ds_write_b64 v115, v[40:41] offset:384
	ds_read2_b64 v[40:43], v113 offset0:80 offset1:112
	s_waitcnt vmcnt(5) lgkmcnt(0)
	v_mul_f32_e32 v35, v41, v183
	v_mul_f32_e32 v47, v40, v183
	v_fma_f32 v46, v40, v182, -v35
	v_fmac_f32_e32 v47, v41, v182
	ds_read_b64 v[40:41], v113 offset:1152
	v_mul_f32_e32 v35, v43, v181
	v_mul_f32_e32 v49, v42, v181
	v_fma_f32 v48, v42, v180, -v35
	v_fmac_f32_e32 v49, v43, v180
	ds_write2_b64 v113, v[46:47], v[48:49] offset0:80 offset1:112
	s_waitcnt vmcnt(3) lgkmcnt(1)
	v_mul_f32_e32 v35, v41, v187
	v_mul_f32_e32 v43, v40, v187
	v_fma_f32 v42, v40, v186, -v35
	v_fmac_f32_e32 v43, v41, v186
	ds_write_b64 v113, v[42:43] offset:1152
	ds_read_b64 v[40:41], v115 offset:1408
	s_waitcnt lgkmcnt(0)
	v_mul_f32_e32 v35, v41, v185
	v_mul_f32_e32 v43, v40, v185
	v_fma_f32 v42, v40, v184, -v35
	v_fmac_f32_e32 v43, v41, v184
	ds_write_b64 v115, v[42:43] offset:1408
	ds_read_b64 v[40:41], v113 offset:1664
	ds_read_b64 v[42:43], v113 offset:1920
	;; [unrolled: 1-line block ×4, first 2 shown]
	s_waitcnt vmcnt(1) lgkmcnt(3)
	v_mul_f32_e32 v35, v41, v55
	v_fma_f32 v50, v40, v54, -v35
	v_mul_f32_e32 v51, v40, v55
	s_waitcnt lgkmcnt(2)
	v_mul_f32_e32 v35, v43, v53
	v_fmac_f32_e32 v51, v41, v54
	v_fma_f32 v40, v42, v52, -v35
	v_mul_f32_e32 v41, v42, v53
	s_waitcnt vmcnt(0) lgkmcnt(1)
	v_mul_f32_e32 v35, v47, v45
	v_fmac_f32_e32 v41, v43, v52
	v_fma_f32 v42, v46, v44, -v35
	v_mul_f32_e32 v43, v46, v45
	s_waitcnt lgkmcnt(0)
	v_mul_f32_e32 v35, v49, v179
	v_mul_f32_e32 v45, v48, v179
	v_fmac_f32_e32 v43, v47, v44
	v_fma_f32 v44, v48, v178, -v35
	v_fmac_f32_e32 v45, v49, v178
	ds_write_b64 v113, v[50:51] offset:1664
	ds_write_b64 v113, v[40:41] offset:1920
	;; [unrolled: 1-line block ×4, first 2 shown]
	s_waitcnt lgkmcnt(0)
	; wave barrier
	s_waitcnt lgkmcnt(0)
	ds_read2_b64 v[164:167], v115 offset0:128 offset1:160
	ds_read2_b64 v[40:43], v113 offset0:208 offset1:224
	;; [unrolled: 1-line block ×4, first 2 shown]
	s_waitcnt lgkmcnt(3)
	v_mov_b32_e32 v48, v166
	s_waitcnt lgkmcnt(2)
	v_mov_b32_e32 v49, v42
	;; [unrolled: 2-line block ×4, first 2 shown]
	v_pk_add_f32 v[48:49], v[48:49], v[50:51] neg_lo:[0,1] neg_hi:[0,1]
	v_pk_add_f32 v[172:173], v[168:169], v[164:165] neg_lo:[0,1] neg_hi:[0,1]
	v_mov_b32_e32 v50, v49
	v_pk_add_f32 v[176:177], v[48:49], v[50:51]
	v_mov_b32_e32 v48, v167
	v_mov_b32_e32 v49, v43
	;; [unrolled: 1-line block ×4, first 2 shown]
	v_pk_add_f32 v[56:57], v[48:49], v[50:51] neg_lo:[0,1] neg_hi:[0,1]
	ds_read2_b64 v[48:51], v113 offset0:144 offset1:192
	ds_read2_b64 v[52:55], v19 offset0:112 offset1:128
	v_mov_b32_e32 v58, v57
	v_pk_add_f32 v[178:179], v[56:57], v[58:59]
	ds_read2_b64 v[56:59], v115 offset1:16
	s_waitcnt lgkmcnt(2)
	v_pk_add_f32 v[186:187], v[164:165], v[50:51] neg_lo:[0,1] neg_hi:[0,1]
	s_waitcnt lgkmcnt(1)
	v_pk_add_f32 v[174:175], v[54:55], v[50:51] neg_lo:[0,1] neg_hi:[0,1]
	v_pk_add_f32 v[182:183], v[168:169], v[54:55] neg_lo:[0,1] neg_hi:[0,1]
	v_pk_add_f32 v[180:181], v[172:173], v[174:175]
	v_pk_add_f32 v[172:173], v[164:165], v[50:51]
	v_pk_mul_f32 v[174:175], v[182:183], s[12:13] op_sel_hi:[1,0]
	s_waitcnt lgkmcnt(0)
	v_pk_fma_f32 v[172:173], v[172:173], 0.5, v[56:57] op_sel_hi:[1,0,1] neg_lo:[1,0,0] neg_hi:[1,0,0]
	v_pk_add_f32 v[190:191], v[170:171], v[166:167] neg_lo:[0,1] neg_hi:[0,1]
	v_pk_add_f32 v[184:185], v[172:173], v[174:175] op_sel:[0,1] op_sel_hi:[1,0] neg_lo:[0,1] neg_hi:[0,1]
	v_pk_add_f32 v[172:173], v[172:173], v[174:175] op_sel:[0,1] op_sel_hi:[1,0]
	v_pk_mul_f32 v[174:175], v[186:187], s[2:3] op_sel_hi:[1,0]
	v_pk_add_f32 v[192:193], v[46:47], v[42:43] neg_lo:[0,1] neg_hi:[0,1]
	v_pk_add_f32 v[188:189], v[172:173], v[174:175] op_sel:[0,1] op_sel_hi:[1,0]
	v_pk_add_f32 v[184:185], v[184:185], v[174:175] op_sel:[0,1] op_sel_hi:[1,0] neg_lo:[0,1] neg_hi:[0,1]
	ds_read2_b64 v[172:175], v115 offset0:32 offset1:48
	v_pk_add_f32 v[190:191], v[190:191], v[192:193]
	v_pk_add_f32 v[192:193], v[166:167], v[42:43]
	v_pk_add_f32 v[194:195], v[170:171], v[46:47] neg_lo:[0,1] neg_hi:[0,1]
	s_waitcnt lgkmcnt(0)
	v_pk_fma_f32 v[192:193], v[192:193], 0.5, v[172:173] op_sel_hi:[1,0,1] neg_lo:[1,0,0] neg_hi:[1,0,0]
	v_pk_mul_f32 v[196:197], v[194:195], s[12:13] op_sel_hi:[1,0]
	v_mov_b32_e32 v177, v195
	v_pk_add_f32 v[198:199], v[192:193], v[196:197] op_sel:[0,1] op_sel_hi:[1,0]
	v_pk_add_f32 v[192:193], v[192:193], v[196:197] op_sel:[0,1] op_sel_hi:[1,0] neg_lo:[0,1] neg_hi:[0,1]
	v_pk_add_f32 v[196:197], v[166:167], v[42:43] neg_lo:[0,1] neg_hi:[0,1]
	v_mov_b32_e32 v179, v194
	v_pk_mul_f32 v[200:201], v[196:197], s[2:3] op_sel_hi:[1,0]
	s_nop 0
	v_pk_add_f32 v[198:199], v[200:201], v[198:199] op_sel:[1,0] op_sel_hi:[0,1]
	v_pk_add_f32 v[192:193], v[192:193], v[200:201] op_sel:[0,1] op_sel_hi:[1,0] neg_lo:[0,1] neg_hi:[0,1]
	v_mov_b32_e32 v200, v184
	v_mov_b32_e32 v201, v189
	v_pk_fma_f32 v[200:201], v[180:181], s[6:7], v[200:201] op_sel_hi:[1,0,1]
	v_pk_fma_f32 v[202:203], v[190:191], s[6:7], v[198:199] op_sel_hi:[1,0,1]
	s_mov_b32 s7, s2
	v_mov_b32_e32 v198, v192
	v_pk_fma_f32 v[198:199], v[190:191], s[6:7], v[198:199] op_sel_hi:[1,0,1]
	v_pk_fma_f32 v[190:191], v[190:191], s[6:7], v[192:193] op_sel_hi:[1,0,1]
	v_pk_add_f32 v[192:193], v[170:171], v[46:47]
	v_pk_add_f32 v[170:171], v[172:173], v[170:171]
	v_fma_f32 v35, -0.5, v192, v172
	v_fma_f32 v184, -0.5, v193, v173
	v_pk_mul_f32 v[192:193], v[198:199], s[2:3] op_sel_hi:[1,0]
	v_pk_add_f32 v[166:167], v[170:171], v[166:167]
	v_pk_fma_f32 v[194:195], v[198:199], s[14:15], v[192:193] op_sel:[0,0,1] op_sel_hi:[1,0,0] neg_lo:[0,0,1] neg_hi:[0,0,1]
	v_pk_fma_f32 v[192:193], v[198:199], s[14:15], v[192:193] op_sel:[0,0,1] op_sel_hi:[1,0,0]
	v_pk_add_f32 v[170:171], v[50:51], v[54:55] neg_lo:[0,1] neg_hi:[0,1]
	v_mov_b32_e32 v195, v193
	v_pk_add_f32 v[192:193], v[56:57], v[168:169]
	v_fmamk_f32 v189, v197, 0x3f737871, v35
	v_pk_add_f32 v[192:193], v[192:193], v[164:165]
	v_pk_add_f32 v[164:165], v[164:165], v[168:169] neg_lo:[0,1] neg_hi:[0,1]
	v_pk_add_f32 v[168:169], v[168:169], v[54:55]
	v_pk_add_f32 v[164:165], v[164:165], v[170:171]
	v_pk_fma_f32 v[56:57], v[168:169], 0.5, v[56:57] op_sel_hi:[1,0,1] neg_lo:[1,0,0] neg_hi:[1,0,0]
	v_pk_mul_f32 v[168:169], v[186:187], s[12:13] op_sel_hi:[1,0]
	v_fmac_f32_e32 v35, 0xbf737871, v197
	v_pk_add_f32 v[170:171], v[56:57], v[168:169] op_sel:[0,1] op_sel_hi:[1,0]
	v_pk_add_f32 v[56:57], v[56:57], v[168:169] op_sel:[0,1] op_sel_hi:[1,0] neg_lo:[0,1] neg_hi:[0,1]
	v_pk_mul_f32 v[168:169], v[182:183], s[2:3] op_sel_hi:[1,0]
	v_fmamk_f32 v197, v196, 0xbf737871, v184
	v_pk_add_f32 v[56:57], v[56:57], v[168:169] op_sel:[0,1] op_sel_hi:[1,0]
	v_pk_add_f32 v[168:169], v[170:171], v[168:169] op_sel:[0,1] op_sel_hi:[1,0] neg_lo:[0,1] neg_hi:[0,1]
	v_pk_mul_f32 v[170:171], v[176:177], s[6:7]
	v_fmac_f32_e32 v184, 0x3f737871, v196
	v_sub_f32_e32 v182, v189, v171
	v_pk_mul_f32 v[172:173], v[178:179], s[6:7]
	v_add_f32_e32 v35, v171, v35
	v_add_f32_e32 v176, v173, v197
	;; [unrolled: 1-line block ×4, first 2 shown]
	v_sub_f32_e32 v35, v184, v173
	s_mov_b32 s13, s6
	v_add_f32_e32 v176, v172, v176
	v_add_f32_e32 v172, v172, v35
	v_pk_mul_f32 v[172:173], v[172:173], s[12:13] op_sel_hi:[0,1]
	v_pk_mul_f32 v[176:177], v[176:177], s[12:13] op_sel_hi:[0,1]
	v_pk_fma_f32 v[172:173], v[170:171], s[16:17], v[172:173] op_sel_hi:[0,1,1] neg_lo:[0,0,1] neg_hi:[0,0,1]
	v_mov_b32_e32 v171, v57
	v_mov_b32_e32 v57, v169
	v_pk_fma_f32 v[182:183], v[178:179], s[8:9], v[176:177] neg_lo:[0,0,1] neg_hi:[0,0,1]
	v_pk_fma_f32 v[176:177], v[178:179], s[8:9], v[176:177] op_sel_hi:[0,1,1]
	v_mov_b32_e32 v170, v168
	v_pk_fma_f32 v[186:187], v[164:165], s[6:7], v[56:57] op_sel_hi:[1,0,1]
	v_mov_b32_e32 v189, v185
	v_pk_mul_f32 v[56:57], v[190:191], s[2:3] op_sel:[1,0]
	v_pk_add_f32 v[50:51], v[192:193], v[50:51]
	v_pk_add_f32 v[42:43], v[166:167], v[42:43]
	v_mov_b32_e32 v183, v177
	v_pk_fma_f32 v[168:169], v[164:165], s[6:7], v[170:171] op_sel_hi:[1,0,1]
	v_pk_fma_f32 v[184:185], v[180:181], s[6:7], v[188:189] op_sel_hi:[1,0,1]
	v_pk_fma_f32 v[188:189], v[202:203], s[10:11], v[56:57] op_sel_hi:[0,1,1] neg_lo:[0,0,1] neg_hi:[0,0,1]
	v_pk_add_f32 v[50:51], v[50:51], v[54:55]
	v_pk_add_f32 v[42:43], v[42:43], v[46:47]
	v_pk_add_f32 v[166:167], v[168:169], v[182:183] neg_lo:[0,1] neg_hi:[0,1]
	v_pk_add_f32 v[54:55], v[50:51], v[42:43]
	v_pk_add_f32 v[168:169], v[168:169], v[182:183]
	;; [unrolled: 1-line block ×3, first 2 shown]
	v_pk_add_f32 v[178:179], v[50:51], v[42:43] neg_lo:[0,1] neg_hi:[0,1]
	v_pk_add_f32 v[176:177], v[184:185], v[188:189]
	v_pk_add_f32 v[180:181], v[186:187], v[172:173] neg_lo:[0,1] neg_hi:[0,1]
	v_pk_add_f32 v[182:183], v[184:185], v[188:189] neg_lo:[0,1] neg_hi:[0,1]
	ds_read_b64 v[42:43], v115 offset:1408
	ds_read_b64 v[46:47], v113 offset:2432
	ds_read2_b64 v[184:187], v113 offset0:80 offset1:112
	v_pk_add_f32 v[56:57], v[200:201], v[194:195]
	v_pk_add_f32 v[164:165], v[200:201], v[194:195] neg_lo:[0,1] neg_hi:[0,1]
	s_waitcnt lgkmcnt(0)
	; wave barrier
	s_waitcnt lgkmcnt(0)
	ds_write_b128 v135, v[54:57]
	ds_write_b128 v135, v[168:171] offset:16
	ds_write_b128 v135, v[176:179] offset:32
	;; [unrolled: 1-line block ×4, first 2 shown]
	v_pk_add_f32 v[56:57], v[184:185], v[48:49] neg_lo:[0,1] neg_hi:[0,1]
	v_pk_add_f32 v[164:165], v[44:45], v[40:41] neg_lo:[0,1] neg_hi:[0,1]
	;; [unrolled: 1-line block ×3, first 2 shown]
	v_pk_add_f32 v[164:165], v[56:57], v[164:165]
	v_pk_add_f32 v[56:57], v[48:49], v[40:41]
	v_pk_mul_f32 v[168:169], v[166:167], s[12:13] op_sel_hi:[1,0]
	v_pk_fma_f32 v[56:57], v[56:57], 0.5, v[58:59] op_sel_hi:[1,0,1] neg_lo:[1,0,0] neg_hi:[1,0,0]
	v_pk_add_f32 v[50:51], v[186:187], v[46:47]
	v_pk_add_f32 v[170:171], v[56:57], v[168:169] op_sel:[0,1] op_sel_hi:[1,0] neg_lo:[0,1] neg_hi:[0,1]
	v_pk_add_f32 v[56:57], v[56:57], v[168:169] op_sel:[0,1] op_sel_hi:[1,0]
	v_pk_add_f32 v[168:169], v[48:49], v[40:41] neg_lo:[0,1] neg_hi:[0,1]
	v_fma_f32 v35, -0.5, v50, v174
	v_fma_f32 v135, -0.5, v51, v175
	v_pk_add_f32 v[50:51], v[42:43], v[52:53]
	v_pk_mul_f32 v[172:173], v[168:169], s[2:3] op_sel_hi:[1,0]
	v_pk_fma_f32 v[50:51], v[50:51], 0.5, v[174:175] op_sel_hi:[1,0,1] neg_lo:[1,0,0] neg_hi:[1,0,0]
	v_pk_add_f32 v[54:55], v[174:175], v[186:187]
	v_pk_add_f32 v[174:175], v[56:57], v[172:173] op_sel:[0,1] op_sel_hi:[1,0]
	v_pk_add_f32 v[170:171], v[170:171], v[172:173] op_sel:[0,1] op_sel_hi:[1,0] neg_lo:[0,1] neg_hi:[0,1]
	v_pk_add_f32 v[56:57], v[186:187], v[42:43] neg_lo:[0,1] neg_hi:[0,1]
	v_pk_add_f32 v[172:173], v[46:47], v[52:53] neg_lo:[0,1] neg_hi:[0,1]
	v_pk_add_f32 v[176:177], v[186:187], v[46:47] neg_lo:[0,1] neg_hi:[0,1]
	v_pk_add_f32 v[172:173], v[56:57], v[172:173]
	v_pk_mul_f32 v[56:57], v[176:177], s[12:13] op_sel_hi:[1,0]
	v_pk_add_f32 v[180:181], v[42:43], v[52:53] neg_lo:[0,1] neg_hi:[0,1]
	v_pk_add_f32 v[178:179], v[50:51], v[56:57] op_sel:[0,1] op_sel_hi:[1,0]
	v_pk_add_f32 v[50:51], v[50:51], v[56:57] op_sel:[0,1] op_sel_hi:[1,0] neg_lo:[0,1] neg_hi:[0,1]
	v_pk_mul_f32 v[56:57], v[180:181], s[2:3] op_sel_hi:[1,0]
	v_pk_add_f32 v[54:55], v[54:55], v[42:43]
	v_pk_add_f32 v[178:179], v[56:57], v[178:179] op_sel:[1,0] op_sel_hi:[0,1]
	v_pk_add_f32 v[50:51], v[50:51], v[56:57] op_sel:[0,1] op_sel_hi:[1,0] neg_lo:[0,1] neg_hi:[0,1]
	v_pk_fma_f32 v[182:183], v[172:173], s[6:7], v[178:179] op_sel_hi:[1,0,1]
	v_mov_b32_e32 v178, v50
	v_pk_fma_f32 v[56:57], v[172:173], s[6:7], v[178:179] op_sel_hi:[1,0,1]
	v_pk_add_f32 v[54:55], v[54:55], v[52:53]
	v_pk_mul_f32 v[178:179], v[56:57], s[2:3] op_sel_hi:[1,0]
	v_pk_add_f32 v[190:191], v[54:55], v[46:47]
	v_pk_fma_f32 v[188:189], v[56:57], s[14:15], v[178:179] op_sel:[0,0,1] op_sel_hi:[1,0,0] neg_lo:[0,0,1] neg_hi:[0,0,1]
	v_pk_fma_f32 v[56:57], v[56:57], s[14:15], v[178:179] op_sel:[0,0,1] op_sel_hi:[1,0,0]
	v_mov_b32_e32 v54, v170
	v_mov_b32_e32 v189, v57
	v_pk_add_f32 v[56:57], v[58:59], v[184:185]
	v_mov_b32_e32 v55, v175
	v_pk_add_f32 v[56:57], v[56:57], v[48:49]
	v_pk_fma_f32 v[192:193], v[164:165], s[6:7], v[54:55] op_sel_hi:[1,0,1]
	v_pk_add_f32 v[56:57], v[56:57], v[40:41]
	v_pk_add_f32 v[40:41], v[40:41], v[44:45] neg_lo:[0,1] neg_hi:[0,1]
	v_pk_add_f32 v[178:179], v[56:57], v[44:45]
	v_pk_add_f32 v[56:57], v[192:193], v[188:189]
	;; [unrolled: 1-line block ×3, first 2 shown]
	ds_write_b128 v133, v[54:57]
	v_mov_b32_e32 v54, v42
	v_mov_b32_e32 v55, v52
	;; [unrolled: 1-line block ×4, first 2 shown]
	v_pk_add_f32 v[54:55], v[54:55], v[56:57] neg_lo:[0,1] neg_hi:[0,1]
	v_mov_b32_e32 v52, v43
	v_mov_b32_e32 v42, v55
	;; [unrolled: 1-line block ×3, first 2 shown]
	v_pk_add_f32 v[44:45], v[184:185], v[44:45]
	v_pk_add_f32 v[54:55], v[54:55], v[42:43]
	v_pk_add_f32 v[42:43], v[48:49], v[184:185] neg_lo:[0,1] neg_hi:[0,1]
	v_pk_add_f32 v[46:47], v[52:53], v[46:47] neg_lo:[0,1] neg_hi:[0,1]
	v_pk_fma_f32 v[44:45], v[44:45], 0.5, v[58:59] op_sel_hi:[1,0,1] neg_lo:[1,0,0] neg_hi:[1,0,0]
	v_mov_b32_e32 v48, v47
	v_pk_add_f32 v[40:41], v[42:43], v[40:41]
	v_pk_mul_f32 v[42:43], v[168:169], s[12:13] op_sel_hi:[1,0]
	v_pk_add_f32 v[46:47], v[46:47], v[48:49]
	v_mov_b32_e32 v55, v177
	v_pk_add_f32 v[48:49], v[44:45], v[42:43] op_sel:[0,1] op_sel_hi:[1,0]
	v_pk_add_f32 v[42:43], v[44:45], v[42:43] op_sel:[0,1] op_sel_hi:[1,0] neg_lo:[0,1] neg_hi:[0,1]
	v_pk_mul_f32 v[44:45], v[166:167], s[2:3] op_sel_hi:[1,0]
	v_mov_b32_e32 v47, v176
	v_fmamk_f32 v52, v181, 0x3f737871, v35
	v_fmac_f32_e32 v35, 0xbf737871, v181
	v_pk_add_f32 v[42:43], v[42:43], v[44:45] op_sel:[0,1] op_sel_hi:[1,0]
	v_pk_add_f32 v[44:45], v[48:49], v[44:45] op_sel:[0,1] op_sel_hi:[1,0] neg_lo:[0,1] neg_hi:[0,1]
	v_pk_mul_f32 v[48:49], v[54:55], s[6:7]
	v_fmamk_f32 v53, v180, 0xbf737871, v135
	v_fmac_f32_e32 v135, 0x3f737871, v180
	v_sub_f32_e32 v54, v52, v49
	v_pk_mul_f32 v[46:47], v[46:47], s[6:7]
	v_add_f32_e32 v35, v49, v35
	v_add_f32_e32 v52, v47, v53
	v_add_f32_e32 v54, v48, v54
	v_add_f32_e32 v48, v48, v35
	v_sub_f32_e32 v35, v135, v47
	v_add_f32_e32 v52, v46, v52
	v_add_f32_e32 v46, v46, v35
	v_pk_mul_f32 v[52:53], v[52:53], s[12:13] op_sel_hi:[0,1]
	v_pk_mul_f32 v[46:47], v[46:47], s[12:13] op_sel_hi:[0,1]
	v_pk_fma_f32 v[56:57], v[54:55], s[8:9], v[52:53] neg_lo:[0,0,1] neg_hi:[0,0,1]
	v_pk_fma_f32 v[52:53], v[54:55], s[8:9], v[52:53] op_sel_hi:[0,1,1]
	v_pk_fma_f32 v[46:47], v[48:49], s[16:17], v[46:47] op_sel_hi:[0,1,1] neg_lo:[0,0,1] neg_hi:[0,0,1]
	v_mov_b32_e32 v48, v44
	v_mov_b32_e32 v49, v43
	;; [unrolled: 1-line block ×4, first 2 shown]
	v_pk_fma_f32 v[44:45], v[40:41], s[6:7], v[48:49] op_sel_hi:[1,0,1]
	v_pk_fma_f32 v[48:49], v[40:41], s[6:7], v[42:43] op_sel_hi:[1,0,1]
	v_pk_add_f32 v[40:41], v[44:45], v[56:57]
	v_pk_add_f32 v[42:43], v[48:49], v[46:47]
	ds_write_b128 v133, v[40:43] offset:16
	v_pk_fma_f32 v[40:41], v[172:173], s[6:7], v[50:51] op_sel_hi:[1,0,1]
	v_mov_b32_e32 v175, v171
	v_pk_mul_f32 v[40:41], v[40:41], s[2:3] op_sel:[1,0]
	v_pk_fma_f32 v[50:51], v[164:165], s[6:7], v[174:175] op_sel_hi:[1,0,1]
	v_pk_fma_f32 v[52:53], v[182:183], s[10:11], v[40:41] op_sel_hi:[0,1,1] neg_lo:[0,0,1] neg_hi:[0,0,1]
	v_pk_add_f32 v[42:43], v[178:179], v[190:191] neg_lo:[0,1] neg_hi:[0,1]
	v_pk_add_f32 v[40:41], v[50:51], v[52:53]
	ds_write_b128 v133, v[40:43] offset:32
	v_pk_add_f32 v[40:41], v[192:193], v[188:189] neg_lo:[0,1] neg_hi:[0,1]
	v_pk_add_f32 v[42:43], v[44:45], v[56:57] neg_lo:[0,1] neg_hi:[0,1]
	ds_write_b128 v133, v[40:43] offset:48
	v_pk_add_f32 v[40:41], v[48:49], v[46:47] neg_lo:[0,1] neg_hi:[0,1]
	v_pk_add_f32 v[42:43], v[50:51], v[52:53] neg_lo:[0,1] neg_hi:[0,1]
	ds_write_b128 v133, v[40:43] offset:64
	s_waitcnt lgkmcnt(0)
	; wave barrier
	s_waitcnt lgkmcnt(0)
	ds_read2_b64 v[40:43], v101 offset0:32 offset1:48
	ds_read2_b64 v[44:47], v101 offset1:16
	s_waitcnt lgkmcnt(1)
	v_pk_mul_f32 v[48:49], v[104:105], v[42:43] op_sel:[1,0]
	s_nop 0
	v_pk_fma_f32 v[50:51], v[104:105], v[42:43], v[48:49] op_sel:[0,0,1] op_sel_hi:[1,1,0]
	v_pk_fma_f32 v[48:49], v[104:105], v[42:43], v[48:49] op_sel:[0,0,1] op_sel_hi:[0,1,0] neg_lo:[0,0,1] neg_hi:[0,0,1]
	v_pk_mul_f32 v[42:43], v[106:107], v[40:41] op_sel:[1,0]
	s_waitcnt lgkmcnt(0)
	v_pk_mul_f32 v[56:57], v[110:111], v[46:47] op_sel:[1,0]
	v_pk_fma_f32 v[52:53], v[106:107], v[40:41], v[42:43] op_sel:[0,0,1] op_sel_hi:[1,1,0]
	v_pk_fma_f32 v[54:55], v[106:107], v[40:41], v[42:43] op_sel:[0,0,1] op_sel_hi:[0,1,0] neg_lo:[0,0,1] neg_hi:[0,0,1]
	ds_read2_b64 v[40:43], v115 offset0:224 offset1:240
	v_pk_fma_f32 v[58:59], v[110:111], v[46:47], v[56:57] op_sel:[0,0,1] op_sel_hi:[1,1,0]
	v_pk_fma_f32 v[56:57], v[110:111], v[46:47], v[56:57] op_sel:[0,0,1] op_sel_hi:[0,1,0] neg_lo:[0,0,1] neg_hi:[0,0,1]
	v_pk_mul_f32 v[46:47], v[108:109], v[44:45] op_sel:[1,0]
	v_mov_b32_e32 v59, v57
	v_pk_fma_f32 v[104:105], v[108:109], v[44:45], v[46:47] op_sel:[0,0,1] op_sel_hi:[1,1,0]
	v_pk_fma_f32 v[106:107], v[108:109], v[44:45], v[46:47] op_sel:[0,0,1] op_sel_hi:[0,1,0] neg_lo:[0,0,1] neg_hi:[0,0,1]
	ds_read2_b64 v[44:47], v115 offset0:128 offset1:144
	s_waitcnt lgkmcnt(1)
	v_pk_mul_f32 v[108:109], v[118:119], v[42:43] op_sel:[1,0]
	v_mov_b32_e32 v105, v107
	v_pk_fma_f32 v[110:111], v[118:119], v[42:43], v[108:109] op_sel:[0,0,1] op_sel_hi:[1,1,0]
	v_pk_fma_f32 v[108:109], v[118:119], v[42:43], v[108:109] op_sel:[0,0,1] op_sel_hi:[0,1,0] neg_lo:[0,0,1] neg_hi:[0,0,1]
	v_pk_mul_f32 v[42:43], v[124:125], v[40:41] op_sel_hi:[0,1]
	v_pk_fma_f32 v[118:119], v[14:15], v[40:41], v[42:43] op_sel:[0,0,1] op_sel_hi:[1,1,0]
	v_pk_fma_f32 v[164:165], v[14:15], v[40:41], v[42:43] op_sel:[0,0,1] op_sel_hi:[0,1,0] neg_lo:[0,0,1] neg_hi:[0,0,1]
	ds_read2_b64 v[40:43], v115 offset0:192 offset1:208
	s_waitcnt lgkmcnt(1)
	v_pk_mul_f32 v[14:15], v[12:13], v[46:47] op_sel:[1,0]
	v_mov_b32_e32 v111, v109
	v_pk_fma_f32 v[166:167], v[12:13], v[46:47], v[14:15] op_sel:[0,0,1] op_sel_hi:[1,1,0]
	v_pk_fma_f32 v[46:47], v[12:13], v[46:47], v[14:15] op_sel:[0,0,1] op_sel_hi:[0,1,0] neg_lo:[0,0,1] neg_hi:[0,0,1]
	v_pk_mul_f32 v[12:13], v[8:9], v[44:45] op_sel:[1,0]
	v_mov_b32_e32 v53, v55
	v_pk_fma_f32 v[168:169], v[8:9], v[44:45], v[12:13] op_sel:[0,0,1] op_sel_hi:[1,1,0]
	v_pk_fma_f32 v[44:45], v[8:9], v[44:45], v[12:13] op_sel:[0,0,1] op_sel_hi:[0,1,0] neg_lo:[0,0,1] neg_hi:[0,0,1]
	ds_read2_b64 v[12:15], v115 offset0:96 offset1:112
	s_waitcnt lgkmcnt(1)
	v_pk_mul_f32 v[8:9], v[112:113], v[42:43] op_sel_hi:[0,1]
	v_pk_fma_f32 v[170:171], v[10:11], v[42:43], v[8:9] op_sel:[0,0,1] op_sel_hi:[1,1,0]
	v_pk_fma_f32 v[42:43], v[10:11], v[42:43], v[8:9] op_sel:[0,0,1] op_sel_hi:[0,1,0] neg_lo:[0,0,1] neg_hi:[0,0,1]
	v_pk_mul_f32 v[8:9], v[114:115], v[40:41] op_sel_hi:[0,1]
	v_pk_fma_f32 v[172:173], v[6:7], v[40:41], v[8:9] op_sel:[0,0,1] op_sel_hi:[1,1,0]
	v_pk_fma_f32 v[40:41], v[6:7], v[40:41], v[8:9] op_sel:[0,0,1] op_sel_hi:[0,1,0] neg_lo:[0,0,1] neg_hi:[0,0,1]
	ds_read2_b64 v[8:11], v115 offset0:160 offset1:176
	s_waitcnt lgkmcnt(1)
	v_pk_mul_f32 v[174:175], v[4:5], v[14:15] op_sel:[1,0]
	v_mov_b32_e32 v173, v41
	v_pk_fma_f32 v[176:177], v[4:5], v[14:15], v[174:175] op_sel:[0,0,1] op_sel_hi:[1,1,0]
	v_pk_fma_f32 v[4:5], v[4:5], v[14:15], v[174:175] op_sel:[0,0,1] op_sel_hi:[0,1,0] neg_lo:[0,0,1] neg_hi:[0,0,1]
	v_pk_mul_f32 v[14:15], v[0:1], v[12:13] op_sel:[1,0]
	v_mov_b32_e32 v177, v5
	v_pk_fma_f32 v[174:175], v[0:1], v[12:13], v[14:15] op_sel:[0,0,1] op_sel_hi:[1,1,0]
	v_pk_fma_f32 v[178:179], v[0:1], v[12:13], v[14:15] op_sel:[0,0,1] op_sel_hi:[0,1,0] neg_lo:[0,0,1] neg_hi:[0,0,1]
	ds_read2_b64 v[12:15], v115 offset0:64 offset1:80
	s_waitcnt lgkmcnt(1)
	v_pk_mul_f32 v[0:1], v[120:121], v[10:11] op_sel_hi:[0,1]
	v_pk_fma_f32 v[180:181], v[2:3], v[10:11], v[0:1] op_sel:[0,0,1] op_sel_hi:[1,1,0]
	v_pk_fma_f32 v[182:183], v[2:3], v[10:11], v[0:1] op_sel:[0,0,1] op_sel_hi:[0,1,0] neg_lo:[0,0,1] neg_hi:[0,0,1]
	v_pk_mul_f32 v[0:1], v[116:117], v[8:9] op_sel_hi:[0,1]
	v_pk_fma_f32 v[10:11], v[26:27], v[8:9], v[0:1] op_sel:[0,0,1] op_sel_hi:[1,1,0]
	v_pk_fma_f32 v[8:9], v[26:27], v[8:9], v[0:1] op_sel:[0,0,1] op_sel_hi:[0,1,0] neg_lo:[0,0,1] neg_hi:[0,0,1]
	ds_read2_b64 v[0:3], v115 offset1:16
	s_waitcnt lgkmcnt(1)
	v_pk_mul_f32 v[26:27], v[24:25], v[14:15] op_sel:[1,0]
	v_mov_b32_e32 v11, v9
	v_pk_fma_f32 v[184:185], v[24:25], v[14:15], v[26:27] op_sel:[0,0,1] op_sel_hi:[1,1,0]
	v_pk_fma_f32 v[14:15], v[24:25], v[14:15], v[26:27] op_sel:[0,0,1] op_sel_hi:[0,1,0] neg_lo:[0,0,1] neg_hi:[0,0,1]
	v_mov_b32_e32 v185, v15
	s_waitcnt lgkmcnt(0)
	v_pk_add_f32 v[14:15], v[0:1], v[10:11] neg_lo:[0,1] neg_hi:[0,1]
	v_pk_add_f32 v[8:9], v[184:185], v[110:111] neg_lo:[0,1] neg_hi:[0,1]
	v_pk_fma_f32 v[0:1], v[0:1], 2.0, v[14:15] op_sel_hi:[1,0,1] neg_lo:[0,0,1] neg_hi:[0,0,1]
	v_pk_fma_f32 v[10:11], v[184:185], 2.0, v[8:9] op_sel_hi:[1,0,1] neg_lo:[0,0,1] neg_hi:[0,0,1]
	v_pk_add_f32 v[24:25], v[14:15], v[8:9] op_sel:[0,1] op_sel_hi:[1,0]
	v_pk_add_f32 v[8:9], v[14:15], v[8:9] op_sel:[0,1] op_sel_hi:[1,0] neg_lo:[0,1] neg_hi:[0,1]
	v_pk_add_f32 v[26:27], v[0:1], v[10:11] neg_lo:[0,1] neg_hi:[0,1]
	v_mov_b32_e32 v25, v9
	v_pk_fma_f32 v[0:1], v[0:1], 2.0, v[26:27] op_sel_hi:[1,0,1] neg_lo:[0,0,1] neg_hi:[0,0,1]
	ds_read2_b64 v[8:11], v115 offset0:32 offset1:48
	v_pk_fma_f32 v[14:15], v[14:15], 2.0, v[24:25] op_sel_hi:[1,0,1] neg_lo:[0,0,1] neg_hi:[0,0,1]
	v_mov_b32_e32 v175, v179
	v_mov_b32_e32 v181, v183
	s_waitcnt lgkmcnt(0)
	; wave barrier
	s_waitcnt lgkmcnt(0)
	ds_write2_b64 v103, v[0:1], v[14:15] offset1:10
	ds_write2_b64 v103, v[26:27], v[24:25] offset0:20 offset1:30
	v_pk_add_f32 v[0:1], v[2:3], v[180:181] neg_lo:[0,1] neg_hi:[0,1]
	v_pk_add_f32 v[14:15], v[174:175], v[104:105] neg_lo:[0,1] neg_hi:[0,1]
	v_pk_fma_f32 v[2:3], v[2:3], 2.0, v[0:1] op_sel_hi:[1,0,1] neg_lo:[0,0,1] neg_hi:[0,0,1]
	v_pk_fma_f32 v[24:25], v[174:175], 2.0, v[14:15] op_sel_hi:[1,0,1] neg_lo:[0,0,1] neg_hi:[0,0,1]
	v_pk_add_f32 v[26:27], v[0:1], v[14:15] op_sel:[0,1] op_sel_hi:[1,0]
	v_pk_add_f32 v[14:15], v[0:1], v[14:15] op_sel:[0,1] op_sel_hi:[1,0] neg_lo:[0,1] neg_hi:[0,1]
	v_mov_b32_e32 v169, v45
	v_mov_b32_e32 v27, v15
	v_pk_add_f32 v[14:15], v[2:3], v[24:25] neg_lo:[0,1] neg_hi:[0,1]
	v_pk_fma_f32 v[0:1], v[0:1], 2.0, v[26:27] op_sel_hi:[1,0,1] neg_lo:[0,0,1] neg_hi:[0,0,1]
	v_pk_fma_f32 v[2:3], v[2:3], 2.0, v[14:15] op_sel_hi:[1,0,1] neg_lo:[0,0,1] neg_hi:[0,0,1]
	ds_write2_b64 v155, v[2:3], v[0:1] offset1:10
	ds_write2_b64 v155, v[14:15], v[26:27] offset0:20 offset1:30
	v_pk_add_f32 v[0:1], v[8:9], v[172:173] neg_lo:[0,1] neg_hi:[0,1]
	v_pk_add_f32 v[2:3], v[176:177], v[58:59] neg_lo:[0,1] neg_hi:[0,1]
	v_mov_b32_e32 v171, v43
	v_pk_fma_f32 v[4:5], v[176:177], 2.0, v[2:3] op_sel_hi:[1,0,1] neg_lo:[0,0,1] neg_hi:[0,0,1]
	v_pk_add_f32 v[14:15], v[0:1], v[2:3] op_sel:[0,1] op_sel_hi:[1,0]
	v_pk_add_f32 v[2:3], v[0:1], v[2:3] op_sel:[0,1] op_sel_hi:[1,0] neg_lo:[0,1] neg_hi:[0,1]
	v_mov_b32_e32 v167, v47
	v_mov_b32_e32 v15, v3
	v_pk_fma_f32 v[2:3], v[8:9], 2.0, v[0:1] op_sel_hi:[1,0,1] neg_lo:[0,0,1] neg_hi:[0,0,1]
	v_pk_fma_f32 v[0:1], v[0:1], 2.0, v[14:15] op_sel_hi:[1,0,1] neg_lo:[0,0,1] neg_hi:[0,0,1]
	v_pk_add_f32 v[4:5], v[2:3], v[4:5] neg_lo:[0,1] neg_hi:[0,1]
	v_mov_b32_e32 v119, v165
	v_pk_fma_f32 v[2:3], v[2:3], 2.0, v[4:5] op_sel_hi:[1,0,1] neg_lo:[0,0,1] neg_hi:[0,0,1]
	ds_write2_b64 v161, v[2:3], v[0:1] offset1:10
	ds_write2_b64 v161, v[4:5], v[14:15] offset0:20 offset1:30
	v_pk_add_f32 v[0:1], v[10:11], v[170:171] neg_lo:[0,1] neg_hi:[0,1]
	v_pk_add_f32 v[4:5], v[168:169], v[52:53] neg_lo:[0,1] neg_hi:[0,1]
	v_pk_fma_f32 v[2:3], v[10:11], 2.0, v[0:1] op_sel_hi:[1,0,1] neg_lo:[0,0,1] neg_hi:[0,0,1]
	v_pk_fma_f32 v[8:9], v[168:169], 2.0, v[4:5] op_sel_hi:[1,0,1] neg_lo:[0,0,1] neg_hi:[0,0,1]
	v_pk_add_f32 v[10:11], v[0:1], v[4:5] op_sel:[0,1] op_sel_hi:[1,0]
	v_pk_add_f32 v[4:5], v[0:1], v[4:5] op_sel:[0,1] op_sel_hi:[1,0] neg_lo:[0,1] neg_hi:[0,1]
	v_mov_b32_e32 v51, v49
	v_mov_b32_e32 v11, v5
	v_pk_add_f32 v[4:5], v[2:3], v[8:9] neg_lo:[0,1] neg_hi:[0,1]
	v_pk_fma_f32 v[0:1], v[0:1], 2.0, v[10:11] op_sel_hi:[1,0,1] neg_lo:[0,0,1] neg_hi:[0,0,1]
	v_pk_fma_f32 v[2:3], v[2:3], 2.0, v[4:5] op_sel_hi:[1,0,1] neg_lo:[0,0,1] neg_hi:[0,0,1]
	ds_write2_b64 v163, v[2:3], v[0:1] offset1:10
	ds_write2_b64 v163, v[4:5], v[10:11] offset0:20 offset1:30
	v_pk_add_f32 v[0:1], v[12:13], v[118:119] neg_lo:[0,1] neg_hi:[0,1]
	v_pk_add_f32 v[4:5], v[166:167], v[50:51] neg_lo:[0,1] neg_hi:[0,1]
	v_pk_fma_f32 v[2:3], v[12:13], 2.0, v[0:1] op_sel_hi:[1,0,1] neg_lo:[0,0,1] neg_hi:[0,0,1]
	v_pk_fma_f32 v[8:9], v[166:167], 2.0, v[4:5] op_sel_hi:[1,0,1] neg_lo:[0,0,1] neg_hi:[0,0,1]
	v_pk_add_f32 v[10:11], v[0:1], v[4:5] op_sel:[0,1] op_sel_hi:[1,0]
	v_pk_add_f32 v[4:5], v[0:1], v[4:5] op_sel:[0,1] op_sel_hi:[1,0] neg_lo:[0,1] neg_hi:[0,1]
	v_pk_add_f32 v[8:9], v[2:3], v[8:9] neg_lo:[0,1] neg_hi:[0,1]
	v_mov_b32_e32 v11, v5
	v_pk_fma_f32 v[2:3], v[2:3], 2.0, v[8:9] op_sel_hi:[1,0,1] neg_lo:[0,0,1] neg_hi:[0,0,1]
	v_pk_fma_f32 v[0:1], v[0:1], 2.0, v[10:11] op_sel_hi:[1,0,1] neg_lo:[0,0,1] neg_hi:[0,0,1]
	ds_write2_b64 v7, v[2:3], v[0:1] offset1:10
	ds_write2_b64 v7, v[8:9], v[10:11] offset0:20 offset1:30
	s_waitcnt lgkmcnt(0)
	; wave barrier
	s_waitcnt lgkmcnt(0)
	ds_read2_b64 v[0:3], v101 offset0:32 offset1:48
	ds_read2_b64 v[4:7], v115 offset0:224 offset1:240
	s_waitcnt lgkmcnt(1)
	v_pk_mul_f32 v[8:9], v[130:131], v[0:1] op_sel:[1,0]
	s_nop 0
	v_pk_fma_f32 v[10:11], v[130:131], v[0:1], v[8:9] op_sel:[0,0,1] op_sel_hi:[1,1,0]
	v_pk_fma_f32 v[12:13], v[130:131], v[0:1], v[8:9] op_sel:[0,0,1] op_sel_hi:[0,1,0] neg_lo:[0,0,1] neg_hi:[0,0,1]
	v_pk_mul_f32 v[0:1], v[136:137], v[2:3] op_sel:[1,0]
	s_waitcnt lgkmcnt(0)
	v_pk_mul_f32 v[8:9], v[126:127], v[6:7] op_sel:[1,0]
	v_pk_fma_f32 v[14:15], v[136:137], v[2:3], v[0:1] op_sel:[0,0,1] op_sel_hi:[1,1,0]
	v_pk_fma_f32 v[24:25], v[136:137], v[2:3], v[0:1] op_sel:[0,0,1] op_sel_hi:[0,1,0] neg_lo:[0,0,1] neg_hi:[0,0,1]
	ds_read2_b64 v[0:3], v115 offset0:128 offset1:144
	v_pk_fma_f32 v[26:27], v[126:127], v[6:7], v[8:9] op_sel:[0,0,1] op_sel_hi:[1,1,0]
	v_pk_fma_f32 v[8:9], v[126:127], v[6:7], v[8:9] op_sel:[0,0,1] op_sel_hi:[0,1,0] neg_lo:[0,0,1] neg_hi:[0,0,1]
	v_pk_mul_f32 v[6:7], v[160:161], v[4:5] op_sel_hi:[0,1]
	v_pk_fma_f32 v[40:41], v[34:35], v[4:5], v[6:7] op_sel:[0,0,1] op_sel_hi:[1,1,0]
	v_pk_fma_f32 v[34:35], v[34:35], v[4:5], v[6:7] op_sel:[0,0,1] op_sel_hi:[0,1,0] neg_lo:[0,0,1] neg_hi:[0,0,1]
	s_waitcnt lgkmcnt(0)
	v_pk_mul_f32 v[42:43], v[32:33], v[2:3] op_sel:[1,0]
	ds_read2_b64 v[4:7], v115 offset0:192 offset1:208
	v_pk_fma_f32 v[44:45], v[32:33], v[2:3], v[42:43] op_sel:[0,0,1] op_sel_hi:[1,1,0]
	v_pk_fma_f32 v[32:33], v[32:33], v[2:3], v[42:43] op_sel:[0,0,1] op_sel_hi:[0,1,0] neg_lo:[0,0,1] neg_hi:[0,0,1]
	v_pk_mul_f32 v[2:3], v[28:29], v[0:1] op_sel:[1,0]
	v_mov_b32_e32 v27, v9
	v_pk_fma_f32 v[42:43], v[28:29], v[0:1], v[2:3] op_sel:[0,0,1] op_sel_hi:[1,1,0]
	v_pk_fma_f32 v[28:29], v[28:29], v[0:1], v[2:3] op_sel:[0,0,1] op_sel_hi:[0,1,0] neg_lo:[0,0,1] neg_hi:[0,0,1]
	ds_read2_b64 v[0:3], v115 offset0:96 offset1:112
	s_waitcnt lgkmcnt(1)
	v_pk_mul_f32 v[46:47], v[162:163], v[6:7] op_sel_hi:[0,1]
	v_pk_fma_f32 v[48:49], v[30:31], v[6:7], v[46:47] op_sel:[0,0,1] op_sel_hi:[1,1,0]
	v_pk_fma_f32 v[46:47], v[30:31], v[6:7], v[46:47] op_sel:[0,0,1] op_sel_hi:[0,1,0] neg_lo:[0,0,1] neg_hi:[0,0,1]
	v_pk_mul_f32 v[6:7], v[154:155], v[4:5] op_sel_hi:[0,1]
	v_pk_fma_f32 v[50:51], v[38:39], v[4:5], v[6:7] op_sel:[0,0,1] op_sel_hi:[1,1,0]
	v_pk_fma_f32 v[38:39], v[38:39], v[4:5], v[6:7] op_sel:[0,0,1] op_sel_hi:[0,1,0] neg_lo:[0,0,1] neg_hi:[0,0,1]
	s_waitcnt lgkmcnt(0)
	v_pk_mul_f32 v[52:53], v[36:37], v[2:3] op_sel:[1,0]
	ds_read2_b64 v[4:7], v115 offset0:160 offset1:176
	v_pk_fma_f32 v[54:55], v[36:37], v[2:3], v[52:53] op_sel:[0,0,1] op_sel_hi:[1,1,0]
	v_pk_fma_f32 v[36:37], v[36:37], v[2:3], v[52:53] op_sel:[0,0,1] op_sel_hi:[0,1,0] neg_lo:[0,0,1] neg_hi:[0,0,1]
	v_pk_mul_f32 v[2:3], v[20:21], v[0:1] op_sel:[1,0]
	v_mov_b32_e32 v11, v13
	v_pk_fma_f32 v[52:53], v[20:21], v[0:1], v[2:3] op_sel:[0,0,1] op_sel_hi:[1,1,0]
	v_pk_fma_f32 v[20:21], v[20:21], v[0:1], v[2:3] op_sel:[0,0,1] op_sel_hi:[0,1,0] neg_lo:[0,0,1] neg_hi:[0,0,1]
	ds_read2_b64 v[0:3], v115 offset0:64 offset1:80
	s_waitcnt lgkmcnt(1)
	v_pk_mul_f32 v[56:57], v[134:135], v[6:7] op_sel_hi:[0,1]
	v_pk_fma_f32 v[58:59], v[22:23], v[6:7], v[56:57] op_sel:[0,0,1] op_sel_hi:[1,1,0]
	v_pk_fma_f32 v[6:7], v[22:23], v[6:7], v[56:57] op_sel:[0,0,1] op_sel_hi:[0,1,0] neg_lo:[0,0,1] neg_hi:[0,0,1]
	v_pk_mul_f32 v[56:57], v[132:133], v[4:5] op_sel_hi:[0,1]
	v_pk_fma_f32 v[104:105], v[18:19], v[4:5], v[56:57] op_sel:[0,0,1] op_sel_hi:[1,1,0]
	v_pk_fma_f32 v[4:5], v[18:19], v[4:5], v[56:57] op_sel:[0,0,1] op_sel_hi:[0,1,0] neg_lo:[0,0,1] neg_hi:[0,0,1]
	s_waitcnt lgkmcnt(0)
	v_pk_mul_f32 v[56:57], v[16:17], v[2:3] op_sel:[1,0]
	v_mov_b32_e32 v105, v5
	v_pk_fma_f32 v[106:107], v[16:17], v[2:3], v[56:57] op_sel:[0,0,1] op_sel_hi:[1,1,0]
	v_pk_fma_f32 v[2:3], v[16:17], v[2:3], v[56:57] op_sel:[0,0,1] op_sel_hi:[0,1,0] neg_lo:[0,0,1] neg_hi:[0,0,1]
	v_mov_b32_e32 v107, v3
	ds_read2_b64 v[2:5], v101 offset1:16
	v_mov_b32_e32 v59, v7
	ds_read2_b64 v[6:9], v115 offset1:16
	v_mov_b32_e32 v53, v21
	v_mov_b32_e32 v55, v37
	s_waitcnt lgkmcnt(1)
	v_pk_mul_f32 v[16:17], v[128:129], v[2:3] op_sel:[1,0]
	v_pk_mul_f32 v[36:37], v[122:123], v[4:5] op_sel:[1,0]
	v_pk_fma_f32 v[20:21], v[128:129], v[2:3], v[16:17] op_sel:[0,0,1] op_sel_hi:[1,1,0]
	v_pk_fma_f32 v[2:3], v[128:129], v[2:3], v[16:17] op_sel:[0,0,1] op_sel_hi:[0,1,0] neg_lo:[0,0,1] neg_hi:[0,0,1]
	s_waitcnt lgkmcnt(0)
	v_pk_add_f32 v[16:17], v[8:9], v[58:59] neg_lo:[0,1] neg_hi:[0,1]
	v_mov_b32_e32 v21, v3
	v_pk_add_f32 v[2:3], v[6:7], v[104:105] neg_lo:[0,1] neg_hi:[0,1]
	v_pk_fma_f32 v[56:57], v[8:9], 2.0, v[16:17] op_sel_hi:[1,0,1] neg_lo:[0,0,1] neg_hi:[0,0,1]
	v_pk_add_f32 v[8:9], v[106:107], v[26:27] neg_lo:[0,1] neg_hi:[0,1]
	v_pk_fma_f32 v[6:7], v[6:7], 2.0, v[2:3] op_sel_hi:[1,0,1] neg_lo:[0,0,1] neg_hi:[0,0,1]
	v_pk_fma_f32 v[26:27], v[106:107], 2.0, v[8:9] op_sel_hi:[1,0,1] neg_lo:[0,0,1] neg_hi:[0,0,1]
	v_pk_add_f32 v[58:59], v[2:3], v[8:9] op_sel:[0,1] op_sel_hi:[1,0]
	v_pk_add_f32 v[8:9], v[2:3], v[8:9] op_sel:[0,1] op_sel_hi:[1,0] neg_lo:[0,1] neg_hi:[0,1]
	v_pk_add_f32 v[12:13], v[6:7], v[26:27] neg_lo:[0,1] neg_hi:[0,1]
	v_mov_b32_e32 v59, v9
	v_pk_add_f32 v[8:9], v[52:53], v[20:21] neg_lo:[0,1] neg_hi:[0,1]
	v_pk_fma_f32 v[26:27], v[6:7], 2.0, v[12:13] op_sel_hi:[1,0,1] neg_lo:[0,0,1] neg_hi:[0,0,1]
	v_pk_fma_f32 v[20:21], v[52:53], 2.0, v[8:9] op_sel_hi:[1,0,1] neg_lo:[0,0,1] neg_hi:[0,0,1]
	v_pk_add_f32 v[52:53], v[16:17], v[8:9] op_sel:[0,1] op_sel_hi:[1,0]
	v_pk_add_f32 v[8:9], v[16:17], v[8:9] op_sel:[0,1] op_sel_hi:[1,0] neg_lo:[0,1] neg_hi:[0,1]
	v_mov_b32_e32 v51, v39
	v_mov_b32_e32 v53, v9
	ds_read2_b64 v[6:9], v115 offset0:32 offset1:48
	v_pk_fma_f32 v[38:39], v[122:123], v[4:5], v[36:37] op_sel:[0,0,1] op_sel_hi:[1,1,0]
	v_pk_fma_f32 v[4:5], v[122:123], v[4:5], v[36:37] op_sel:[0,0,1] op_sel_hi:[0,1,0] neg_lo:[0,0,1] neg_hi:[0,0,1]
	v_mov_b32_e32 v43, v29
	v_mov_b32_e32 v49, v47
	;; [unrolled: 1-line block ×6, first 2 shown]
	v_pk_add_f32 v[20:21], v[56:57], v[20:21] neg_lo:[0,1] neg_hi:[0,1]
	v_pk_fma_f32 v[2:3], v[2:3], 2.0, v[58:59] op_sel_hi:[1,0,1] neg_lo:[0,0,1] neg_hi:[0,0,1]
	s_waitcnt lgkmcnt(0)
	v_pk_add_f32 v[28:29], v[8:9], v[48:49] neg_lo:[0,1] neg_hi:[0,1]
	v_pk_add_f32 v[32:33], v[0:1], v[40:41] neg_lo:[0,1] neg_hi:[0,1]
	;; [unrolled: 1-line block ×6, first 2 shown]
	v_pk_fma_f32 v[24:25], v[56:57], 2.0, v[20:21] op_sel_hi:[1,0,1] neg_lo:[0,0,1] neg_hi:[0,0,1]
	v_pk_fma_f32 v[16:17], v[16:17], 2.0, v[52:53] op_sel_hi:[1,0,1] neg_lo:[0,0,1] neg_hi:[0,0,1]
	;; [unrolled: 1-line block ×8, first 2 shown]
	s_waitcnt lgkmcnt(0)
	; wave barrier
	ds_write_b64 v115, v[2:3] offset:320
	ds_write_b64 v115, v[12:13] offset:640
	ds_write_b64 v115, v[58:59] offset:960
	ds_write2_b64 v115, v[26:27], v[24:25] offset1:16
	ds_write_b64 v115, v[16:17] offset:448
	ds_write_b64 v115, v[20:21] offset:768
	;; [unrolled: 1-line block ×3, first 2 shown]
	v_pk_add_f32 v[2:3], v[4:5], v[36:37] op_sel:[0,1] op_sel_hi:[1,0]
	v_pk_add_f32 v[12:13], v[4:5], v[36:37] op_sel:[0,1] op_sel_hi:[1,0] neg_lo:[0,1] neg_hi:[0,1]
	v_pk_add_f32 v[34:35], v[8:9], v[34:35] neg_lo:[0,1] neg_hi:[0,1]
	v_pk_add_f32 v[40:41], v[0:1], v[40:41] neg_lo:[0,1] neg_hi:[0,1]
	;; [unrolled: 1-line block ×3, first 2 shown]
	v_mov_b32_e32 v3, v13
	v_pk_fma_f32 v[8:9], v[8:9], 2.0, v[34:35] op_sel_hi:[1,0,1] neg_lo:[0,0,1] neg_hi:[0,0,1]
	v_pk_fma_f32 v[0:1], v[0:1], 2.0, v[40:41] op_sel_hi:[1,0,1] neg_lo:[0,0,1] neg_hi:[0,0,1]
	;; [unrolled: 1-line block ×4, first 2 shown]
	ds_write2_b64 v23, v[6:7], v[4:5] offset1:40
	ds_write2_b64 v23, v[38:39], v[2:3] offset0:80 offset1:120
	v_pk_add_f32 v[2:3], v[28:29], v[10:11] op_sel:[0,1] op_sel_hi:[1,0]
	v_pk_add_f32 v[4:5], v[28:29], v[10:11] op_sel:[0,1] op_sel_hi:[1,0] neg_lo:[0,1] neg_hi:[0,1]
	ds_write2_b64 v115, v[8:9], v[0:1] offset0:168 offset1:184
	v_pk_add_f32 v[0:1], v[32:33], v[14:15] op_sel:[0,1] op_sel_hi:[1,0]
	v_pk_add_f32 v[6:7], v[32:33], v[14:15] op_sel:[0,1] op_sel_hi:[1,0] neg_lo:[0,1] neg_hi:[0,1]
	v_mov_b32_e32 v3, v5
	v_mov_b32_e32 v1, v7
	v_pk_fma_f32 v[4:5], v[28:29], 2.0, v[2:3] op_sel_hi:[1,0,1] neg_lo:[0,0,1] neg_hi:[0,0,1]
	v_pk_fma_f32 v[6:7], v[32:33], 2.0, v[0:1] op_sel_hi:[1,0,1] neg_lo:[0,0,1] neg_hi:[0,0,1]
	ds_write2_b64 v115, v[4:5], v[6:7] offset0:208 offset1:224
	ds_write2_b64 v31, v[34:35], v[40:41] offset0:120 offset1:136
	;; [unrolled: 1-line block ×3, first 2 shown]
	s_waitcnt lgkmcnt(0)
	; wave barrier
	s_waitcnt lgkmcnt(0)
	ds_read2_b64 v[0:3], v115 offset0:160 offset1:176
	ds_read2_b64 v[4:7], v115 offset1:16
	s_waitcnt lgkmcnt(1)
	v_pk_mul_f32 v[8:9], v[144:145], v[0:1] op_sel:[1,0]
	s_nop 0
	v_pk_fma_f32 v[10:11], v[144:145], v[0:1], v[8:9] op_sel:[0,0,1] op_sel_hi:[1,1,0]
	v_pk_fma_f32 v[0:1], v[144:145], v[0:1], v[8:9] op_sel:[0,0,1] op_sel_hi:[0,1,0] neg_lo:[0,0,1] neg_hi:[0,0,1]
	v_mov_b32_e32 v11, v1
	s_waitcnt lgkmcnt(0)
	v_pk_add_f32 v[8:9], v[4:5], v[10:11] neg_lo:[0,1] neg_hi:[0,1]
	v_pk_mul_f32 v[0:1], v[138:139], v[2:3] op_sel:[1,0]
	v_pk_fma_f32 v[10:11], v[4:5], 2.0, v[8:9] op_sel_hi:[1,0,1] neg_lo:[0,0,1] neg_hi:[0,0,1]
	v_pk_fma_f32 v[4:5], v[138:139], v[2:3], v[0:1] op_sel:[0,0,1] op_sel_hi:[1,1,0]
	v_pk_fma_f32 v[12:13], v[138:139], v[2:3], v[0:1] op_sel:[0,0,1] op_sel_hi:[0,1,0] neg_lo:[0,0,1] neg_hi:[0,0,1]
	ds_read2_b64 v[0:3], v115 offset0:192 offset1:208
	v_mov_b32_e32 v5, v13
	v_pk_add_f32 v[12:13], v[6:7], v[4:5] neg_lo:[0,1] neg_hi:[0,1]
	ds_write2_b64 v115, v[8:9], v[12:13] offset0:160 offset1:176
	v_pk_fma_f32 v[14:15], v[6:7], 2.0, v[12:13] op_sel_hi:[1,0,1] neg_lo:[0,0,1] neg_hi:[0,0,1]
	ds_read2_b64 v[4:7], v115 offset0:32 offset1:48
	s_waitcnt lgkmcnt(2)
	v_pk_mul_f32 v[16:17], v[150:151], v[0:1] op_sel:[1,0]
	s_nop 0
	v_pk_fma_f32 v[20:21], v[150:151], v[0:1], v[16:17] op_sel:[0,0,1] op_sel_hi:[1,1,0]
	v_pk_fma_f32 v[0:1], v[150:151], v[0:1], v[16:17] op_sel:[0,0,1] op_sel_hi:[0,1,0] neg_lo:[0,0,1] neg_hi:[0,0,1]
	v_mov_b32_e32 v21, v1
	s_waitcnt lgkmcnt(0)
	v_pk_add_f32 v[16:17], v[4:5], v[20:21] neg_lo:[0,1] neg_hi:[0,1]
	v_pk_mul_f32 v[0:1], v[156:157], v[2:3] op_sel:[1,0]
	v_pk_fma_f32 v[20:21], v[4:5], 2.0, v[16:17] op_sel_hi:[1,0,1] neg_lo:[0,0,1] neg_hi:[0,0,1]
	v_pk_fma_f32 v[4:5], v[156:157], v[2:3], v[0:1] op_sel:[0,0,1] op_sel_hi:[1,1,0]
	v_pk_fma_f32 v[0:1], v[156:157], v[2:3], v[0:1] op_sel:[0,0,1] op_sel_hi:[0,1,0] neg_lo:[0,0,1] neg_hi:[0,0,1]
	v_mov_b32_e32 v5, v1
	ds_read2_b64 v[0:3], v115 offset0:224 offset1:240
	v_pk_add_f32 v[22:23], v[6:7], v[4:5] neg_lo:[0,1] neg_hi:[0,1]
	ds_write_b64 v115, v[20:21] offset:256
	v_pk_fma_f32 v[24:25], v[6:7], 2.0, v[22:23] op_sel_hi:[1,0,1] neg_lo:[0,0,1] neg_hi:[0,0,1]
	ds_read2_b64 v[4:7], v115 offset0:64 offset1:80
	s_waitcnt lgkmcnt(2)
	v_pk_mul_f32 v[8:9], v[142:143], v[0:1] op_sel:[1,0]
	s_nop 0
	v_pk_fma_f32 v[12:13], v[142:143], v[0:1], v[8:9] op_sel:[0,0,1] op_sel_hi:[1,1,0]
	v_pk_fma_f32 v[0:1], v[142:143], v[0:1], v[8:9] op_sel:[0,0,1] op_sel_hi:[0,1,0] neg_lo:[0,0,1] neg_hi:[0,0,1]
	v_mov_b32_e32 v13, v1
	s_waitcnt lgkmcnt(0)
	v_pk_add_f32 v[8:9], v[4:5], v[12:13] neg_lo:[0,1] neg_hi:[0,1]
	v_pk_mul_f32 v[0:1], v[158:159], v[2:3] op_sel:[1,0]
	v_pk_fma_f32 v[12:13], v[4:5], 2.0, v[8:9] op_sel_hi:[1,0,1] neg_lo:[0,0,1] neg_hi:[0,0,1]
	v_pk_fma_f32 v[4:5], v[158:159], v[2:3], v[0:1] op_sel:[0,0,1] op_sel_hi:[1,1,0]
	v_pk_fma_f32 v[26:27], v[158:159], v[2:3], v[0:1] op_sel:[0,0,1] op_sel_hi:[0,1,0] neg_lo:[0,0,1] neg_hi:[0,0,1]
	ds_read2_b64 v[0:3], v101 offset1:16
	v_mov_b32_e32 v5, v27
	v_pk_add_f32 v[26:27], v[6:7], v[4:5] neg_lo:[0,1] neg_hi:[0,1]
	s_waitcnt lgkmcnt(0)
	v_pk_mul_f32 v[30:31], v[146:147], v[0:1] op_sel:[1,0]
	v_pk_fma_f32 v[28:29], v[6:7], 2.0, v[26:27] op_sel_hi:[1,0,1] neg_lo:[0,0,1] neg_hi:[0,0,1]
	ds_read2_b64 v[4:7], v115 offset0:96 offset1:112
	v_pk_fma_f32 v[32:33], v[146:147], v[0:1], v[30:31] op_sel:[0,0,1] op_sel_hi:[1,1,0]
	v_pk_fma_f32 v[0:1], v[146:147], v[0:1], v[30:31] op_sel:[0,0,1] op_sel_hi:[0,1,0] neg_lo:[0,0,1] neg_hi:[0,0,1]
	v_mov_b32_e32 v33, v1
	v_pk_mul_f32 v[0:1], v[152:153], v[2:3] op_sel:[1,0]
	s_waitcnt lgkmcnt(0)
	v_pk_add_f32 v[30:31], v[4:5], v[32:33] neg_lo:[0,1] neg_hi:[0,1]
	v_pk_fma_f32 v[34:35], v[152:153], v[2:3], v[0:1] op_sel:[0,0,1] op_sel_hi:[0,1,0] neg_lo:[0,0,1] neg_hi:[0,0,1]
	v_pk_fma_f32 v[32:33], v[4:5], 2.0, v[30:31] op_sel_hi:[1,0,1] neg_lo:[0,0,1] neg_hi:[0,0,1]
	v_pk_fma_f32 v[4:5], v[152:153], v[2:3], v[0:1] op_sel:[0,0,1] op_sel_hi:[1,1,0]
	ds_read2_b64 v[0:3], v101 offset0:32 offset1:48
	v_mov_b32_e32 v5, v35
	v_pk_add_f32 v[34:35], v[6:7], v[4:5] neg_lo:[0,1] neg_hi:[0,1]
	v_mov_b32_e32 v101, v102
	v_pk_fma_f32 v[36:37], v[6:7], 2.0, v[34:35] op_sel_hi:[1,0,1] neg_lo:[0,0,1] neg_hi:[0,0,1]
	ds_read2_b64 v[4:7], v115 offset0:128 offset1:144
	s_waitcnt lgkmcnt(1)
	v_pk_mul_f32 v[38:39], v[140:141], v[0:1] op_sel:[1,0]
	v_pk_mul_f32 v[20:21], v[148:149], v[2:3] op_sel:[1,0]
	v_pk_fma_f32 v[40:41], v[140:141], v[0:1], v[38:39] op_sel:[0,0,1] op_sel_hi:[1,1,0]
	v_pk_fma_f32 v[0:1], v[140:141], v[0:1], v[38:39] op_sel:[0,0,1] op_sel_hi:[0,1,0] neg_lo:[0,0,1] neg_hi:[0,0,1]
	v_pk_fma_f32 v[38:39], v[148:149], v[2:3], v[20:21] op_sel:[0,0,1] op_sel_hi:[1,1,0]
	v_pk_fma_f32 v[2:3], v[148:149], v[2:3], v[20:21] op_sel:[0,0,1] op_sel_hi:[0,1,0] neg_lo:[0,0,1] neg_hi:[0,0,1]
	v_mov_b32_e32 v41, v1
	v_mov_b32_e32 v39, v3
	s_waitcnt lgkmcnt(0)
	v_pk_add_f32 v[0:1], v[4:5], v[40:41] neg_lo:[0,1] neg_hi:[0,1]
	v_pk_add_f32 v[2:3], v[6:7], v[38:39] neg_lo:[0,1] neg_hi:[0,1]
	v_pk_fma_f32 v[4:5], v[4:5], 2.0, v[0:1] op_sel_hi:[1,0,1] neg_lo:[0,0,1] neg_hi:[0,0,1]
	v_pk_fma_f32 v[6:7], v[6:7], 2.0, v[2:3] op_sel_hi:[1,0,1] neg_lo:[0,0,1] neg_hi:[0,0,1]
	ds_write2_b64 v115, v[10:11], v[14:15] offset1:16
	ds_write_b64 v113, v[16:17] offset:1536
	ds_write_b64 v115, v[24:25] offset:384
	ds_write_b64 v113, v[22:23] offset:1664
	ds_write_b64 v115, v[12:13] offset:512
	ds_write_b64 v113, v[28:29] offset:640
	ds_write2_b64 v113, v[8:9], v[26:27] offset0:224 offset1:240
	ds_write_b64 v115, v[32:33] offset:768
	ds_write_b64 v113, v[36:37] offset:896
	ds_write2_b64 v125, v[30:31], v[34:35] offset1:16
	ds_write_b64 v115, v[4:5] offset:1024
	ds_write_b64 v113, v[6:7] offset:1152
	ds_write2_b64 v125, v[0:1], v[2:3] offset0:32 offset1:48
	s_waitcnt lgkmcnt(0)
	; wave barrier
	s_waitcnt lgkmcnt(0)
	ds_read2_b64 v[0:3], v115 offset1:16
	v_mov_b32_e32 v8, s0
	v_mov_b32_e32 v9, s1
	s_mov_b32 s0, 0x9999999a
	s_mov_b32 s1, 0x3f699999
	s_waitcnt lgkmcnt(0)
	v_mul_f32_e32 v4, v97, v1
	v_fmac_f32_e32 v4, v96, v0
	v_mul_f32_e32 v0, v97, v0
	v_fma_f32 v0, v96, v1, -v0
	v_cvt_f64_f32_e32 v[0:1], v0
	v_cvt_f64_f32_e32 v[4:5], v4
	v_mul_f64 v[0:1], v[0:1], s[0:1]
	v_mul_f64 v[4:5], v[4:5], s[0:1]
	v_cvt_f32_f64_e32 v11, v[0:1]
	v_mad_u64_u32 v[0:1], s[2:3], s4, v121, 0
	v_cvt_f32_f64_e32 v10, v[4:5]
	v_mov_b32_e32 v4, v1
	v_mad_u64_u32 v[12:13], s[2:3], s5, v121, v[4:5]
	ds_read2_b64 v[4:7], v115 offset0:32 offset1:48
	v_mov_b32_e32 v1, v12
	v_lshl_add_u64 v[8:9], v[100:101], 3, v[8:9]
	v_lshl_add_u64 v[0:1], v[0:1], 3, v[8:9]
	global_store_dwordx2 v[0:1], v[10:11], off
	s_waitcnt lgkmcnt(0)
	v_mul_f32_e32 v8, v95, v5
	v_fmac_f32_e32 v8, v94, v4
	v_cvt_f64_f32_e32 v[8:9], v8
	v_mul_f64 v[8:9], v[8:9], s[0:1]
	v_cvt_f32_f64_e32 v12, v[8:9]
	ds_read2_b64 v[8:11], v115 offset0:64 offset1:96
	v_mul_f32_e32 v4, v95, v4
	v_fma_f32 v4, v94, v5, -v4
	v_cvt_f64_f32_e32 v[4:5], v4
	v_mul_f64 v[4:5], v[4:5], s[0:1]
	v_cvt_f32_f64_e32 v13, v[4:5]
	s_waitcnt lgkmcnt(0)
	v_mul_f32_e32 v4, v91, v9
	v_fmac_f32_e32 v4, v90, v8
	v_cvt_f64_f32_e32 v[4:5], v4
	v_mul_f64 v[4:5], v[4:5], s[0:1]
	v_cvt_f32_f64_e32 v4, v[4:5]
	v_mul_f32_e32 v5, v91, v8
	v_fma_f32 v5, v90, v9, -v5
	s_lshl_b64 s[2:3], s[4:5], 8
	v_cvt_f64_f32_e32 v[8:9], v5
	v_lshl_add_u64 v[0:1], v[0:1], 0, s[2:3]
	v_mul_f64 v[8:9], v[8:9], s[0:1]
	global_store_dwordx2 v[0:1], v[12:13], off
	v_cvt_f32_f64_e32 v5, v[8:9]
	v_lshl_add_u64 v[0:1], v[0:1], 0, s[2:3]
	global_store_dwordx2 v[0:1], v[4:5], off
	v_mul_f32_e32 v4, v89, v11
	v_fmac_f32_e32 v4, v88, v10
	v_cvt_f64_f32_e32 v[4:5], v4
	v_mul_f64 v[4:5], v[4:5], s[0:1]
	v_cvt_f32_f64_e32 v4, v[4:5]
	v_mul_f32_e32 v5, v89, v10
	v_fma_f32 v5, v88, v11, -v5
	ds_read2_b64 v[8:11], v115 offset0:128 offset1:160
	v_cvt_f64_f32_e32 v[12:13], v5
	v_mul_f64 v[12:13], v[12:13], s[0:1]
	v_cvt_f32_f64_e32 v5, v[12:13]
	v_lshl_add_u64 v[0:1], v[0:1], 0, s[2:3]
	global_store_dwordx2 v[0:1], v[4:5], off
	s_waitcnt lgkmcnt(0)
	v_mul_f32_e32 v4, v85, v9
	v_fmac_f32_e32 v4, v84, v8
	v_cvt_f64_f32_e32 v[4:5], v4
	v_mul_f64 v[4:5], v[4:5], s[0:1]
	v_cvt_f32_f64_e32 v4, v[4:5]
	v_mul_f32_e32 v5, v85, v8
	v_fma_f32 v5, v84, v9, -v5
	v_cvt_f64_f32_e32 v[8:9], v5
	v_mul_f64 v[8:9], v[8:9], s[0:1]
	v_cvt_f32_f64_e32 v5, v[8:9]
	v_lshl_add_u64 v[0:1], v[0:1], 0, s[2:3]
	global_store_dwordx2 v[0:1], v[4:5], off
	v_mul_f32_e32 v4, v83, v11
	v_fmac_f32_e32 v4, v82, v10
	v_cvt_f64_f32_e32 v[4:5], v4
	v_mul_f64 v[4:5], v[4:5], s[0:1]
	v_cvt_f32_f64_e32 v4, v[4:5]
	v_mul_f32_e32 v5, v83, v10
	v_fma_f32 v5, v82, v11, -v5
	ds_read2_b64 v[8:11], v113 offset0:144 offset1:192
	v_cvt_f64_f32_e32 v[12:13], v5
	v_mul_f64 v[12:13], v[12:13], s[0:1]
	v_cvt_f32_f64_e32 v5, v[12:13]
	v_lshl_add_u64 v[0:1], v[0:1], 0, s[2:3]
	global_store_dwordx2 v[0:1], v[4:5], off
	s_waitcnt lgkmcnt(0)
	v_mul_f32_e32 v4, v99, v11
	v_fmac_f32_e32 v4, v98, v10
	v_cvt_f64_f32_e32 v[4:5], v4
	v_mul_f64 v[4:5], v[4:5], s[0:1]
	v_cvt_f32_f64_e32 v4, v[4:5]
	v_mul_f32_e32 v5, v99, v10
	v_fma_f32 v5, v98, v11, -v5
	ds_read2_b64 v[10:13], v113 offset0:208 offset1:224
	v_cvt_f64_f32_e32 v[14:15], v5
	v_mul_f64 v[14:15], v[14:15], s[0:1]
	v_cvt_f32_f64_e32 v5, v[14:15]
	v_lshl_add_u64 v[0:1], v[0:1], 0, s[2:3]
	global_store_dwordx2 v[0:1], v[4:5], off
	s_waitcnt lgkmcnt(0)
	;; [unrolled: 14-line block ×4, first 2 shown]
	v_mul_f32_e32 v4, v79, v17
	v_fmac_f32_e32 v4, v78, v16
	v_cvt_f64_f32_e32 v[4:5], v4
	v_mul_f64 v[4:5], v[4:5], s[0:1]
	v_cvt_f32_f64_e32 v4, v[4:5]
	v_mul_f32_e32 v5, v79, v16
	v_fma_f32 v5, v78, v17, -v5
	v_cvt_f64_f32_e32 v[16:17], v5
	v_mul_f64 v[16:17], v[16:17], s[0:1]
	v_cvt_f32_f64_e32 v5, v[16:17]
	v_lshl_add_u64 v[0:1], v[0:1], 0, s[2:3]
	global_store_dwordx2 v[0:1], v[4:5], off
	v_mul_f32_e32 v4, v81, v3
	v_fmac_f32_e32 v4, v80, v2
	v_mul_f32_e32 v2, v81, v2
	v_fma_f32 v2, v80, v3, -v2
	v_mad_u64_u32 v[16:17], s[6:7], s4, v117, v[0:1]
	v_mul_f32_e32 v0, v73, v7
	v_cvt_f64_f32_e32 v[4:5], v4
	v_cvt_f64_f32_e32 v[2:3], v2
	s_mulk_i32 s5, 0xf780
	v_fmac_f32_e32 v0, v72, v6
	v_mul_f64 v[4:5], v[4:5], s[0:1]
	v_mul_f64 v[2:3], v[2:3], s[0:1]
	s_sub_i32 s4, s5, s4
	v_cvt_f64_f32_e32 v[0:1], v0
	v_cvt_f32_f64_e32 v4, v[4:5]
	v_cvt_f32_f64_e32 v5, v[2:3]
	v_add_u32_e32 v17, s4, v17
	v_mul_f64 v[0:1], v[0:1], s[0:1]
	global_store_dwordx2 v[16:17], v[4:5], off
	v_cvt_f32_f64_e32 v4, v[0:1]
	v_mul_f32_e32 v0, v73, v6
	v_fma_f32 v0, v72, v7, -v0
	v_cvt_f64_f32_e32 v[6:7], v0
	ds_read2_b64 v[0:3], v113 offset0:80 offset1:112
	v_mul_f64 v[6:7], v[6:7], s[0:1]
	v_cvt_f32_f64_e32 v5, v[6:7]
	v_lshl_add_u64 v[6:7], v[16:17], 0, s[2:3]
	global_store_dwordx2 v[6:7], v[4:5], off
	s_waitcnt lgkmcnt(0)
	v_mul_f32_e32 v4, v77, v1
	v_fmac_f32_e32 v4, v76, v0
	v_mul_f32_e32 v0, v77, v0
	v_fma_f32 v0, v76, v1, -v0
	v_cvt_f64_f32_e32 v[4:5], v4
	v_cvt_f64_f32_e32 v[0:1], v0
	v_mul_f64 v[4:5], v[4:5], s[0:1]
	v_mul_f64 v[0:1], v[0:1], s[0:1]
	v_cvt_f32_f64_e32 v4, v[4:5]
	v_cvt_f32_f64_e32 v5, v[0:1]
	v_lshl_add_u64 v[0:1], v[6:7], 0, s[2:3]
	global_store_dwordx2 v[0:1], v[4:5], off
	v_mul_f32_e32 v4, v71, v3
	v_fmac_f32_e32 v4, v70, v2
	v_mul_f32_e32 v2, v71, v2
	v_fma_f32 v2, v70, v3, -v2
	v_cvt_f64_f32_e32 v[4:5], v4
	v_cvt_f64_f32_e32 v[2:3], v2
	v_mul_f64 v[4:5], v[4:5], s[0:1]
	v_mul_f64 v[2:3], v[2:3], s[0:1]
	v_cvt_f32_f64_e32 v4, v[4:5]
	v_cvt_f32_f64_e32 v5, v[2:3]
	v_mul_f32_e32 v2, v75, v9
	v_fmac_f32_e32 v2, v74, v8
	v_cvt_f64_f32_e32 v[2:3], v2
	v_mul_f64 v[2:3], v[2:3], s[0:1]
	v_cvt_f32_f64_e32 v2, v[2:3]
	v_mul_f32_e32 v3, v75, v8
	ds_read_b64 v[6:7], v115 offset:1408
	v_lshl_add_u64 v[0:1], v[0:1], 0, s[2:3]
	v_fma_f32 v3, v74, v9, -v3
	global_store_dwordx2 v[0:1], v[4:5], off
	v_cvt_f64_f32_e32 v[4:5], v3
	v_mul_f64 v[4:5], v[4:5], s[0:1]
	v_cvt_f32_f64_e32 v3, v[4:5]
	v_lshl_add_u64 v[0:1], v[0:1], 0, s[2:3]
	global_store_dwordx2 v[0:1], v[2:3], off
	ds_read_b64 v[2:3], v113 offset:2432
	s_waitcnt lgkmcnt(1)
	v_mul_f32_e32 v4, v61, v7
	v_fmac_f32_e32 v4, v60, v6
	v_cvt_f64_f32_e32 v[4:5], v4
	v_mul_f64 v[4:5], v[4:5], s[0:1]
	v_cvt_f32_f64_e32 v4, v[4:5]
	v_mul_f32_e32 v5, v61, v6
	v_fma_f32 v5, v60, v7, -v5
	v_cvt_f64_f32_e32 v[6:7], v5
	v_mul_f64 v[6:7], v[6:7], s[0:1]
	v_cvt_f32_f64_e32 v5, v[6:7]
	v_lshl_add_u64 v[0:1], v[0:1], 0, s[2:3]
	global_store_dwordx2 v[0:1], v[4:5], off
	v_mul_f32_e32 v4, v65, v11
	v_fmac_f32_e32 v4, v64, v10
	v_cvt_f64_f32_e32 v[4:5], v4
	v_mul_f64 v[4:5], v[4:5], s[0:1]
	v_cvt_f32_f64_e32 v4, v[4:5]
	v_mul_f32_e32 v5, v65, v10
	v_fma_f32 v5, v64, v11, -v5
	v_cvt_f64_f32_e32 v[6:7], v5
	v_mul_f64 v[6:7], v[6:7], s[0:1]
	v_cvt_f32_f64_e32 v5, v[6:7]
	v_lshl_add_u64 v[0:1], v[0:1], 0, s[2:3]
	global_store_dwordx2 v[0:1], v[4:5], off
	;; [unrolled: 12-line block ×4, first 2 shown]
	s_waitcnt lgkmcnt(0)
	v_mul_f32_e32 v4, v67, v3
	v_fmac_f32_e32 v4, v66, v2
	v_mul_f32_e32 v2, v67, v2
	v_fma_f32 v2, v66, v3, -v2
	v_cvt_f64_f32_e32 v[4:5], v4
	v_cvt_f64_f32_e32 v[2:3], v2
	v_mul_f64 v[4:5], v[4:5], s[0:1]
	v_mul_f64 v[2:3], v[2:3], s[0:1]
	v_cvt_f32_f64_e32 v4, v[4:5]
	v_cvt_f32_f64_e32 v5, v[2:3]
	v_lshl_add_u64 v[0:1], v[0:1], 0, s[2:3]
	global_store_dwordx2 v[0:1], v[4:5], off
.LBB0_2:
	s_endpgm
	.section	.rodata,"a",@progbits
	.p2align	6, 0x0
	.amdhsa_kernel bluestein_single_back_len320_dim1_sp_op_CI_CI
		.amdhsa_group_segment_fixed_size 10240
		.amdhsa_private_segment_fixed_size 0
		.amdhsa_kernarg_size 104
		.amdhsa_user_sgpr_count 2
		.amdhsa_user_sgpr_dispatch_ptr 0
		.amdhsa_user_sgpr_queue_ptr 0
		.amdhsa_user_sgpr_kernarg_segment_ptr 1
		.amdhsa_user_sgpr_dispatch_id 0
		.amdhsa_user_sgpr_kernarg_preload_length 0
		.amdhsa_user_sgpr_kernarg_preload_offset 0
		.amdhsa_user_sgpr_private_segment_size 0
		.amdhsa_uses_dynamic_stack 0
		.amdhsa_enable_private_segment 0
		.amdhsa_system_sgpr_workgroup_id_x 1
		.amdhsa_system_sgpr_workgroup_id_y 0
		.amdhsa_system_sgpr_workgroup_id_z 0
		.amdhsa_system_sgpr_workgroup_info 0
		.amdhsa_system_vgpr_workitem_id 0
		.amdhsa_next_free_vgpr 204
		.amdhsa_next_free_sgpr 22
		.amdhsa_accum_offset 204
		.amdhsa_reserve_vcc 1
		.amdhsa_float_round_mode_32 0
		.amdhsa_float_round_mode_16_64 0
		.amdhsa_float_denorm_mode_32 3
		.amdhsa_float_denorm_mode_16_64 3
		.amdhsa_dx10_clamp 1
		.amdhsa_ieee_mode 1
		.amdhsa_fp16_overflow 0
		.amdhsa_tg_split 0
		.amdhsa_exception_fp_ieee_invalid_op 0
		.amdhsa_exception_fp_denorm_src 0
		.amdhsa_exception_fp_ieee_div_zero 0
		.amdhsa_exception_fp_ieee_overflow 0
		.amdhsa_exception_fp_ieee_underflow 0
		.amdhsa_exception_fp_ieee_inexact 0
		.amdhsa_exception_int_div_zero 0
	.end_amdhsa_kernel
	.text
.Lfunc_end0:
	.size	bluestein_single_back_len320_dim1_sp_op_CI_CI, .Lfunc_end0-bluestein_single_back_len320_dim1_sp_op_CI_CI
                                        ; -- End function
	.section	.AMDGPU.csdata,"",@progbits
; Kernel info:
; codeLenInByte = 13700
; NumSgprs: 28
; NumVgprs: 204
; NumAgprs: 0
; TotalNumVgprs: 204
; ScratchSize: 0
; MemoryBound: 0
; FloatMode: 240
; IeeeMode: 1
; LDSByteSize: 10240 bytes/workgroup (compile time only)
; SGPRBlocks: 3
; VGPRBlocks: 25
; NumSGPRsForWavesPerEU: 28
; NumVGPRsForWavesPerEU: 204
; AccumOffset: 204
; Occupancy: 2
; WaveLimiterHint : 1
; COMPUTE_PGM_RSRC2:SCRATCH_EN: 0
; COMPUTE_PGM_RSRC2:USER_SGPR: 2
; COMPUTE_PGM_RSRC2:TRAP_HANDLER: 0
; COMPUTE_PGM_RSRC2:TGID_X_EN: 1
; COMPUTE_PGM_RSRC2:TGID_Y_EN: 0
; COMPUTE_PGM_RSRC2:TGID_Z_EN: 0
; COMPUTE_PGM_RSRC2:TIDIG_COMP_CNT: 0
; COMPUTE_PGM_RSRC3_GFX90A:ACCUM_OFFSET: 50
; COMPUTE_PGM_RSRC3_GFX90A:TG_SPLIT: 0
	.text
	.p2alignl 6, 3212836864
	.fill 256, 4, 3212836864
	.type	__hip_cuid_6634985d722d90bf,@object ; @__hip_cuid_6634985d722d90bf
	.section	.bss,"aw",@nobits
	.globl	__hip_cuid_6634985d722d90bf
__hip_cuid_6634985d722d90bf:
	.byte	0                               ; 0x0
	.size	__hip_cuid_6634985d722d90bf, 1

	.ident	"AMD clang version 19.0.0git (https://github.com/RadeonOpenCompute/llvm-project roc-6.4.0 25133 c7fe45cf4b819c5991fe208aaa96edf142730f1d)"
	.section	".note.GNU-stack","",@progbits
	.addrsig
	.addrsig_sym __hip_cuid_6634985d722d90bf
	.amdgpu_metadata
---
amdhsa.kernels:
  - .agpr_count:     0
    .args:
      - .actual_access:  read_only
        .address_space:  global
        .offset:         0
        .size:           8
        .value_kind:     global_buffer
      - .actual_access:  read_only
        .address_space:  global
        .offset:         8
        .size:           8
        .value_kind:     global_buffer
      - .actual_access:  read_only
        .address_space:  global
        .offset:         16
        .size:           8
        .value_kind:     global_buffer
      - .actual_access:  read_only
        .address_space:  global
        .offset:         24
        .size:           8
        .value_kind:     global_buffer
      - .actual_access:  read_only
        .address_space:  global
        .offset:         32
        .size:           8
        .value_kind:     global_buffer
      - .offset:         40
        .size:           8
        .value_kind:     by_value
      - .address_space:  global
        .offset:         48
        .size:           8
        .value_kind:     global_buffer
      - .address_space:  global
        .offset:         56
        .size:           8
        .value_kind:     global_buffer
      - .address_space:  global
        .offset:         64
        .size:           8
        .value_kind:     global_buffer
      - .address_space:  global
        .offset:         72
        .size:           8
        .value_kind:     global_buffer
      - .offset:         80
        .size:           4
        .value_kind:     by_value
      - .address_space:  global
        .offset:         88
        .size:           8
        .value_kind:     global_buffer
      - .address_space:  global
        .offset:         96
        .size:           8
        .value_kind:     global_buffer
    .group_segment_fixed_size: 10240
    .kernarg_segment_align: 8
    .kernarg_segment_size: 104
    .language:       OpenCL C
    .language_version:
      - 2
      - 0
    .max_flat_workgroup_size: 64
    .name:           bluestein_single_back_len320_dim1_sp_op_CI_CI
    .private_segment_fixed_size: 0
    .sgpr_count:     28
    .sgpr_spill_count: 0
    .symbol:         bluestein_single_back_len320_dim1_sp_op_CI_CI.kd
    .uniform_work_group_size: 1
    .uses_dynamic_stack: false
    .vgpr_count:     204
    .vgpr_spill_count: 0
    .wavefront_size: 64
amdhsa.target:   amdgcn-amd-amdhsa--gfx950
amdhsa.version:
  - 1
  - 2
...

	.end_amdgpu_metadata
